;; amdgpu-corpus repo=ROCm/rocFFT kind=compiled arch=gfx906 opt=O3
	.text
	.amdgcn_target "amdgcn-amd-amdhsa--gfx906"
	.amdhsa_code_object_version 6
	.protected	fft_rtc_fwd_len1375_factors_11_5_5_5_wgs_55_tpt_55_halfLds_dp_op_CI_CI_unitstride_sbrr_dirReg ; -- Begin function fft_rtc_fwd_len1375_factors_11_5_5_5_wgs_55_tpt_55_halfLds_dp_op_CI_CI_unitstride_sbrr_dirReg
	.globl	fft_rtc_fwd_len1375_factors_11_5_5_5_wgs_55_tpt_55_halfLds_dp_op_CI_CI_unitstride_sbrr_dirReg
	.p2align	8
	.type	fft_rtc_fwd_len1375_factors_11_5_5_5_wgs_55_tpt_55_halfLds_dp_op_CI_CI_unitstride_sbrr_dirReg,@function
fft_rtc_fwd_len1375_factors_11_5_5_5_wgs_55_tpt_55_halfLds_dp_op_CI_CI_unitstride_sbrr_dirReg: ; @fft_rtc_fwd_len1375_factors_11_5_5_5_wgs_55_tpt_55_halfLds_dp_op_CI_CI_unitstride_sbrr_dirReg
; %bb.0:
	s_load_dwordx4 s[8:11], s[4:5], 0x58
	s_load_dwordx4 s[12:15], s[4:5], 0x0
	;; [unrolled: 1-line block ×3, first 2 shown]
	v_mul_u32_u24_e32 v1, 0x4a8, v0
	v_add_u32_sdwa v6, s6, v1 dst_sel:DWORD dst_unused:UNUSED_PAD src0_sel:DWORD src1_sel:WORD_1
	v_mov_b32_e32 v1, 0
	s_waitcnt lgkmcnt(0)
	v_cmp_lt_u64_e64 s[0:1], s[14:15], 2
	v_mov_b32_e32 v4, 0
	v_mov_b32_e32 v7, v1
	s_and_b64 vcc, exec, s[0:1]
	v_mov_b32_e32 v5, 0
	s_cbranch_vccnz .LBB0_8
; %bb.1:
	s_load_dwordx2 s[0:1], s[4:5], 0x10
	s_add_u32 s2, s18, 8
	s_addc_u32 s3, s19, 0
	s_add_u32 s6, s16, 8
	v_mov_b32_e32 v4, 0
	s_addc_u32 s7, s17, 0
	v_mov_b32_e32 v5, 0
	s_waitcnt lgkmcnt(0)
	s_add_u32 s20, s0, 8
	v_mov_b32_e32 v133, v5
	s_addc_u32 s21, s1, 0
	s_mov_b64 s[22:23], 1
	v_mov_b32_e32 v132, v4
.LBB0_2:                                ; =>This Inner Loop Header: Depth=1
	s_load_dwordx2 s[24:25], s[20:21], 0x0
                                        ; implicit-def: $vgpr134_vgpr135
	s_waitcnt lgkmcnt(0)
	v_or_b32_e32 v2, s25, v7
	v_cmp_ne_u64_e32 vcc, 0, v[1:2]
	s_and_saveexec_b64 s[0:1], vcc
	s_xor_b64 s[26:27], exec, s[0:1]
	s_cbranch_execz .LBB0_4
; %bb.3:                                ;   in Loop: Header=BB0_2 Depth=1
	v_cvt_f32_u32_e32 v2, s24
	v_cvt_f32_u32_e32 v3, s25
	s_sub_u32 s0, 0, s24
	s_subb_u32 s1, 0, s25
	v_mac_f32_e32 v2, 0x4f800000, v3
	v_rcp_f32_e32 v2, v2
	v_mul_f32_e32 v2, 0x5f7ffffc, v2
	v_mul_f32_e32 v3, 0x2f800000, v2
	v_trunc_f32_e32 v3, v3
	v_mac_f32_e32 v2, 0xcf800000, v3
	v_cvt_u32_f32_e32 v3, v3
	v_cvt_u32_f32_e32 v2, v2
	v_mul_lo_u32 v8, s0, v3
	v_mul_hi_u32 v9, s0, v2
	v_mul_lo_u32 v11, s1, v2
	v_mul_lo_u32 v10, s0, v2
	v_add_u32_e32 v8, v9, v8
	v_add_u32_e32 v8, v8, v11
	v_mul_hi_u32 v9, v2, v10
	v_mul_lo_u32 v11, v2, v8
	v_mul_hi_u32 v13, v2, v8
	v_mul_hi_u32 v12, v3, v10
	v_mul_lo_u32 v10, v3, v10
	v_mul_hi_u32 v14, v3, v8
	v_add_co_u32_e32 v9, vcc, v9, v11
	v_addc_co_u32_e32 v11, vcc, 0, v13, vcc
	v_mul_lo_u32 v8, v3, v8
	v_add_co_u32_e32 v9, vcc, v9, v10
	v_addc_co_u32_e32 v9, vcc, v11, v12, vcc
	v_addc_co_u32_e32 v10, vcc, 0, v14, vcc
	v_add_co_u32_e32 v8, vcc, v9, v8
	v_addc_co_u32_e32 v9, vcc, 0, v10, vcc
	v_add_co_u32_e32 v2, vcc, v2, v8
	v_addc_co_u32_e32 v3, vcc, v3, v9, vcc
	v_mul_lo_u32 v8, s0, v3
	v_mul_hi_u32 v9, s0, v2
	v_mul_lo_u32 v10, s1, v2
	v_mul_lo_u32 v11, s0, v2
	v_add_u32_e32 v8, v9, v8
	v_add_u32_e32 v8, v8, v10
	v_mul_lo_u32 v12, v2, v8
	v_mul_hi_u32 v13, v2, v11
	v_mul_hi_u32 v14, v2, v8
	v_mul_hi_u32 v10, v3, v11
	v_mul_lo_u32 v11, v3, v11
	v_mul_hi_u32 v9, v3, v8
	v_add_co_u32_e32 v12, vcc, v13, v12
	v_addc_co_u32_e32 v13, vcc, 0, v14, vcc
	v_mul_lo_u32 v8, v3, v8
	v_add_co_u32_e32 v11, vcc, v12, v11
	v_addc_co_u32_e32 v10, vcc, v13, v10, vcc
	v_addc_co_u32_e32 v9, vcc, 0, v9, vcc
	v_add_co_u32_e32 v8, vcc, v10, v8
	v_addc_co_u32_e32 v9, vcc, 0, v9, vcc
	v_add_co_u32_e32 v8, vcc, v2, v8
	v_addc_co_u32_e32 v9, vcc, v3, v9, vcc
	v_mad_u64_u32 v[2:3], s[0:1], v6, v9, 0
	v_mul_hi_u32 v10, v6, v8
	v_add_co_u32_e32 v10, vcc, v10, v2
	v_addc_co_u32_e32 v11, vcc, 0, v3, vcc
	v_mad_u64_u32 v[2:3], s[0:1], v7, v8, 0
	v_mad_u64_u32 v[8:9], s[0:1], v7, v9, 0
	v_add_co_u32_e32 v2, vcc, v10, v2
	v_addc_co_u32_e32 v2, vcc, v11, v3, vcc
	v_addc_co_u32_e32 v3, vcc, 0, v9, vcc
	v_add_co_u32_e32 v8, vcc, v2, v8
	v_addc_co_u32_e32 v9, vcc, 0, v3, vcc
	v_mul_lo_u32 v10, s25, v8
	v_mul_lo_u32 v11, s24, v9
	v_mad_u64_u32 v[2:3], s[0:1], s24, v8, 0
	v_add3_u32 v3, v3, v11, v10
	v_sub_u32_e32 v10, v7, v3
	v_mov_b32_e32 v11, s25
	v_sub_co_u32_e32 v2, vcc, v6, v2
	v_subb_co_u32_e64 v10, s[0:1], v10, v11, vcc
	v_subrev_co_u32_e64 v11, s[0:1], s24, v2
	v_subbrev_co_u32_e64 v10, s[0:1], 0, v10, s[0:1]
	v_cmp_le_u32_e64 s[0:1], s25, v10
	v_cndmask_b32_e64 v12, 0, -1, s[0:1]
	v_cmp_le_u32_e64 s[0:1], s24, v11
	v_cndmask_b32_e64 v11, 0, -1, s[0:1]
	v_cmp_eq_u32_e64 s[0:1], s25, v10
	v_cndmask_b32_e64 v10, v12, v11, s[0:1]
	v_add_co_u32_e64 v11, s[0:1], 2, v8
	v_addc_co_u32_e64 v12, s[0:1], 0, v9, s[0:1]
	v_add_co_u32_e64 v13, s[0:1], 1, v8
	v_addc_co_u32_e64 v14, s[0:1], 0, v9, s[0:1]
	v_subb_co_u32_e32 v3, vcc, v7, v3, vcc
	v_cmp_ne_u32_e64 s[0:1], 0, v10
	v_cmp_le_u32_e32 vcc, s25, v3
	v_cndmask_b32_e64 v10, v14, v12, s[0:1]
	v_cndmask_b32_e64 v12, 0, -1, vcc
	v_cmp_le_u32_e32 vcc, s24, v2
	v_cndmask_b32_e64 v2, 0, -1, vcc
	v_cmp_eq_u32_e32 vcc, s25, v3
	v_cndmask_b32_e32 v2, v12, v2, vcc
	v_cmp_ne_u32_e32 vcc, 0, v2
	v_cndmask_b32_e64 v2, v13, v11, s[0:1]
	v_cndmask_b32_e32 v135, v9, v10, vcc
	v_cndmask_b32_e32 v134, v8, v2, vcc
.LBB0_4:                                ;   in Loop: Header=BB0_2 Depth=1
	s_andn2_saveexec_b64 s[0:1], s[26:27]
	s_cbranch_execz .LBB0_6
; %bb.5:                                ;   in Loop: Header=BB0_2 Depth=1
	v_cvt_f32_u32_e32 v2, s24
	s_sub_i32 s26, 0, s24
	v_mov_b32_e32 v135, v1
	v_rcp_iflag_f32_e32 v2, v2
	v_mul_f32_e32 v2, 0x4f7ffffe, v2
	v_cvt_u32_f32_e32 v2, v2
	v_mul_lo_u32 v3, s26, v2
	v_mul_hi_u32 v3, v2, v3
	v_add_u32_e32 v2, v2, v3
	v_mul_hi_u32 v2, v6, v2
	v_mul_lo_u32 v3, v2, s24
	v_add_u32_e32 v8, 1, v2
	v_sub_u32_e32 v3, v6, v3
	v_subrev_u32_e32 v9, s24, v3
	v_cmp_le_u32_e32 vcc, s24, v3
	v_cndmask_b32_e32 v3, v3, v9, vcc
	v_cndmask_b32_e32 v2, v2, v8, vcc
	v_add_u32_e32 v8, 1, v2
	v_cmp_le_u32_e32 vcc, s24, v3
	v_cndmask_b32_e32 v134, v2, v8, vcc
.LBB0_6:                                ;   in Loop: Header=BB0_2 Depth=1
	s_or_b64 exec, exec, s[0:1]
	v_mul_lo_u32 v8, v135, s24
	v_mul_lo_u32 v9, v134, s25
	v_mad_u64_u32 v[2:3], s[0:1], v134, s24, 0
	s_load_dwordx2 s[0:1], s[6:7], 0x0
	s_load_dwordx2 s[24:25], s[2:3], 0x0
	v_add3_u32 v3, v3, v9, v8
	v_sub_co_u32_e32 v2, vcc, v6, v2
	v_subb_co_u32_e32 v3, vcc, v7, v3, vcc
	s_waitcnt lgkmcnt(0)
	v_mul_lo_u32 v6, s0, v3
	v_mul_lo_u32 v7, s1, v2
	v_mad_u64_u32 v[4:5], s[0:1], s0, v2, v[4:5]
	v_mul_lo_u32 v3, s24, v3
	v_mul_lo_u32 v8, s25, v2
	v_mad_u64_u32 v[132:133], s[0:1], s24, v2, v[132:133]
	s_add_u32 s22, s22, 1
	s_addc_u32 s23, s23, 0
	s_add_u32 s2, s2, 8
	v_add3_u32 v133, v8, v133, v3
	s_addc_u32 s3, s3, 0
	v_mov_b32_e32 v2, s14
	s_add_u32 s6, s6, 8
	v_mov_b32_e32 v3, s15
	s_addc_u32 s7, s7, 0
	v_cmp_ge_u64_e32 vcc, s[22:23], v[2:3]
	s_add_u32 s20, s20, 8
	v_add3_u32 v5, v7, v5, v6
	s_addc_u32 s21, s21, 0
	s_cbranch_vccnz .LBB0_9
; %bb.7:                                ;   in Loop: Header=BB0_2 Depth=1
	v_mov_b32_e32 v6, v134
	v_mov_b32_e32 v7, v135
	s_branch .LBB0_2
.LBB0_8:
	v_mov_b32_e32 v133, v5
	v_mov_b32_e32 v135, v7
	;; [unrolled: 1-line block ×4, first 2 shown]
.LBB0_9:
	s_load_dwordx2 s[4:5], s[4:5], 0x28
	s_lshl_b64 s[6:7], s[14:15], 3
	s_add_u32 s2, s18, s6
	s_addc_u32 s3, s19, s7
                                        ; implicit-def: $vgpr136
	s_waitcnt lgkmcnt(0)
	v_cmp_gt_u64_e64 s[0:1], s[4:5], v[134:135]
	v_cmp_le_u64_e32 vcc, s[4:5], v[134:135]
	s_and_saveexec_b64 s[4:5], vcc
	s_xor_b64 s[4:5], exec, s[4:5]
; %bb.10:
	s_mov_b32 s14, 0x4a7904b
	v_mul_hi_u32 v1, v0, s14
                                        ; implicit-def: $vgpr4_vgpr5
	v_mul_u32_u24_e32 v1, 55, v1
	v_sub_u32_e32 v136, v0, v1
                                        ; implicit-def: $vgpr0
; %bb.11:
	s_or_saveexec_b64 s[4:5], s[4:5]
	s_load_dwordx2 s[2:3], s[2:3], 0x0
                                        ; implicit-def: $vgpr38_vgpr39
                                        ; implicit-def: $vgpr34_vgpr35
                                        ; implicit-def: $vgpr26_vgpr27
                                        ; implicit-def: $vgpr18_vgpr19
                                        ; implicit-def: $vgpr6_vgpr7
                                        ; implicit-def: $vgpr2_vgpr3
                                        ; implicit-def: $vgpr10_vgpr11
                                        ; implicit-def: $vgpr22_vgpr23
                                        ; implicit-def: $vgpr30_vgpr31
                                        ; implicit-def: $vgpr42_vgpr43
                                        ; implicit-def: $vgpr14_vgpr15
                                        ; implicit-def: $vgpr86_vgpr87
                                        ; implicit-def: $vgpr82_vgpr83
                                        ; implicit-def: $vgpr74_vgpr75
                                        ; implicit-def: $vgpr58_vgpr59
                                        ; implicit-def: $vgpr50_vgpr51
                                        ; implicit-def: $vgpr46_vgpr47
                                        ; implicit-def: $vgpr54_vgpr55
                                        ; implicit-def: $vgpr62_vgpr63
                                        ; implicit-def: $vgpr70_vgpr71
                                        ; implicit-def: $vgpr78_vgpr79
                                        ; implicit-def: $vgpr66_vgpr67
                                        ; implicit-def: $vgpr110_vgpr111
                                        ; implicit-def: $vgpr114_vgpr115
                                        ; implicit-def: $vgpr126_vgpr127
                                        ; implicit-def: $vgpr106_vgpr107
                                        ; implicit-def: $vgpr94_vgpr95
                                        ; implicit-def: $vgpr90_vgpr91
                                        ; implicit-def: $vgpr98_vgpr99
                                        ; implicit-def: $vgpr118_vgpr119
                                        ; implicit-def: $vgpr122_vgpr123
                                        ; implicit-def: $vgpr130_vgpr131
                                        ; implicit-def: $vgpr102_vgpr103
	s_xor_b64 exec, exec, s[4:5]
	s_cbranch_execz .LBB0_15
; %bb.12:
	s_add_u32 s6, s16, s6
	s_addc_u32 s7, s17, s7
	s_load_dwordx2 s[6:7], s[6:7], 0x0
	s_mov_b32 s14, 0x4a7904b
	v_mul_hi_u32 v3, v0, s14
	v_mov_b32_e32 v38, 0
                                        ; implicit-def: $vgpr12_vgpr13
                                        ; implicit-def: $vgpr40_vgpr41
                                        ; implicit-def: $vgpr28_vgpr29
                                        ; implicit-def: $vgpr20_vgpr21
                                        ; implicit-def: $vgpr8_vgpr9
                                        ; implicit-def: $vgpr16_vgpr17
                                        ; implicit-def: $vgpr24_vgpr25
                                        ; implicit-def: $vgpr32_vgpr33
                                        ; implicit-def: $vgpr36_vgpr37
	s_waitcnt lgkmcnt(0)
	v_mul_lo_u32 v6, s7, v134
	v_mul_lo_u32 v7, s6, v135
	v_mad_u64_u32 v[1:2], s[6:7], s6, v134, 0
	v_mul_u32_u24_e32 v3, 55, v3
	v_sub_u32_e32 v136, v0, v3
	v_add3_u32 v2, v2, v7, v6
	v_lshlrev_b64 v[0:1], 4, v[1:2]
	v_mov_b32_e32 v2, s9
	v_add_co_u32_e32 v3, vcc, s8, v0
	v_addc_co_u32_e32 v2, vcc, v2, v1, vcc
	v_lshlrev_b64 v[0:1], 4, v[4:5]
	s_movk_i32 s6, 0x1000
	v_add_co_u32_e32 v39, vcc, v3, v0
	v_addc_co_u32_e32 v137, vcc, v2, v1, vcc
	v_lshlrev_b32_e32 v0, 4, v136
	v_add_co_u32_e32 v2, vcc, v39, v0
	v_addc_co_u32_e32 v3, vcc, 0, v137, vcc
	v_add_co_u32_e32 v6, vcc, s6, v2
	v_addc_co_u32_e32 v7, vcc, 0, v3, vcc
	s_movk_i32 s6, 0x2000
	v_add_co_u32_e32 v26, vcc, s6, v2
	v_addc_co_u32_e32 v27, vcc, 0, v3, vcc
	s_movk_i32 s6, 0x3000
	v_add_co_u32_e32 v18, vcc, s6, v2
	v_addc_co_u32_e32 v19, vcc, 0, v3, vcc
	global_load_dwordx4 v[100:103], v[2:3], off
	global_load_dwordx4 v[64:67], v[2:3], off offset:880
	global_load_dwordx4 v[128:131], v[2:3], off offset:2000
	;; [unrolled: 1-line block ×13, first 2 shown]
	s_movk_i32 s6, 0x4000
	v_add_co_u32_e32 v34, vcc, s6, v2
	v_addc_co_u32_e32 v35, vcc, 0, v3, vcc
	v_add_co_u32_e32 v0, vcc, 0x5000, v2
	v_addc_co_u32_e32 v1, vcc, 0, v3, vcc
	global_load_dwordx4 v[108:111], v[34:35], off offset:3616
	global_load_dwordx4 v[84:87], v[0:1], off offset:400
	global_load_dwordx4 v[104:107], v[18:19], off offset:1712
	global_load_dwordx4 v[56:59], v[18:19], off offset:2592
	global_load_dwordx4 v[124:127], v[18:19], off offset:3712
	global_load_dwordx4 v[72:75], v[34:35], off offset:496
	global_load_dwordx4 v[112:115], v[34:35], off offset:1616
	global_load_dwordx4 v[80:83], v[34:35], off offset:2496
	v_cmp_gt_u32_e32 vcc, 15, v136
                                        ; implicit-def: $vgpr0_vgpr1
                                        ; implicit-def: $vgpr4_vgpr5
	s_and_saveexec_b64 s[6:7], vcc
	s_cbranch_execz .LBB0_14
; %bb.13:
	global_load_dwordx4 v[12:15], v[2:3], off offset:1760
	global_load_dwordx4 v[40:43], v[2:3], off offset:3760
	global_load_dwordx4 v[28:31], v[6:7], off offset:1664
	global_load_dwordx4 v[20:23], v[6:7], off offset:3664
	global_load_dwordx4 v[8:11], v[26:27], off offset:1568
                                        ; kill: killed $vgpr6 killed $vgpr7
                                        ; kill: killed $vgpr2 killed $vgpr3
	s_nop 0
	global_load_dwordx4 v[0:3], v[26:27], off offset:3568
	global_load_dwordx4 v[4:7], v[18:19], off offset:1472
	s_nop 0
	global_load_dwordx4 v[16:19], v[18:19], off offset:3472
	s_nop 0
	;; [unrolled: 2-line block ×3, first 2 shown]
	global_load_dwordx4 v[32:35], v[34:35], off offset:3376
	v_or_b32_e32 v37, 0x550, v136
	v_lshlrev_b64 v[36:37], 4, v[37:38]
	v_add_co_u32_e32 v36, vcc, v39, v36
	v_addc_co_u32_e32 v37, vcc, v137, v37, vcc
	global_load_dwordx4 v[36:39], v[36:37], off
.LBB0_14:
	s_or_b64 exec, exec, s[6:7]
.LBB0_15:
	s_or_b64 exec, exec, s[4:5]
	s_waitcnt vmcnt(7)
	v_add_f64 v[139:140], v[108:109], v[128:129]
	s_mov_b32 s4, 0x8764f0ba
	s_mov_b32 s5, 0x3feaeb8c
	v_add_f64 v[141:142], v[130:131], -v[110:111]
	s_waitcnt vmcnt(1)
	v_add_f64 v[143:144], v[112:113], v[120:121]
	s_mov_b32 s16, 0xf8bb580b
	s_mov_b32 s6, 0xd9c712b6
	;; [unrolled: 1-line block ×3, first 2 shown]
	v_mul_f64 v[147:148], v[139:140], s[4:5]
	s_mov_b32 s20, 0x7f775887
	s_mov_b32 s26, 0x9bcd5057
	;; [unrolled: 1-line block ×9, first 2 shown]
	v_add_f64 v[145:146], v[122:123], -v[114:115]
	v_mul_f64 v[149:150], v[139:140], s[6:7]
	v_mul_f64 v[151:152], v[139:140], s[8:9]
	;; [unrolled: 1-line block ×5, first 2 shown]
	v_fma_f64 v[159:160], v[141:142], s[16:17], v[147:148]
	v_fma_f64 v[147:148], v[141:142], s[22:23], v[147:148]
	s_mov_b32 s14, 0x8eee2c13
	s_mov_b32 s28, 0x43842ef
	;; [unrolled: 1-line block ×16, first 2 shown]
	v_mul_f64 v[157:158], v[143:144], s[20:21]
	v_fma_f64 v[161:162], v[141:142], s[14:15], v[149:150]
	v_fma_f64 v[149:150], v[141:142], s[36:37], v[149:150]
	;; [unrolled: 1-line block ×10, first 2 shown]
	v_add_f64 v[147:148], v[100:101], v[147:148]
	v_add_f64 v[137:138], v[128:129], v[100:101]
	v_fma_f64 v[169:170], v[145:146], s[38:39], v[157:158]
	v_add_f64 v[159:160], v[100:101], v[159:160]
	v_add_f64 v[161:162], v[100:101], v[161:162]
	;; [unrolled: 1-line block ×8, first 2 shown]
	v_mul_f64 v[171:172], v[143:144], s[26:27]
	v_add_f64 v[100:101], v[100:101], v[139:140]
	v_fma_f64 v[139:140], v[145:146], s[24:25], v[157:158]
	v_add_f64 v[147:148], v[155:156], v[147:148]
	v_add_f64 v[155:156], v[124:125], v[116:117]
	;; [unrolled: 1-line block ×3, first 2 shown]
	v_mul_f64 v[157:158], v[143:144], s[8:9]
	v_add_f64 v[159:160], v[169:170], v[161:162]
	v_fma_f64 v[161:162], v[145:146], s[30:31], v[171:172]
	v_fma_f64 v[169:170], v[145:146], s[34:35], v[171:172]
	v_add_f64 v[139:140], v[139:140], v[149:150]
	v_mul_f64 v[143:144], v[143:144], s[4:5]
	v_add_f64 v[149:150], v[118:119], -v[126:127]
	v_mul_f64 v[171:172], v[155:156], s[8:9]
	v_fma_f64 v[173:174], v[145:146], s[18:19], v[157:158]
	v_fma_f64 v[157:158], v[145:146], s[28:29], v[157:158]
	v_add_f64 v[161:162], v[161:162], v[163:164]
	v_add_f64 v[151:152], v[169:170], v[151:152]
	v_mul_f64 v[163:164], v[155:156], s[26:27]
	v_fma_f64 v[169:170], v[145:146], s[22:23], v[143:144]
	v_fma_f64 v[143:144], v[145:146], s[16:17], v[143:144]
	v_fma_f64 v[145:146], v[149:150], s[28:29], v[171:172]
	v_add_f64 v[165:166], v[173:174], v[165:166]
	v_add_f64 v[153:154], v[157:158], v[153:154]
	v_mul_f64 v[157:158], v[155:156], s[6:7]
	v_fma_f64 v[171:172], v[149:150], s[18:19], v[171:172]
	v_fma_f64 v[173:174], v[149:150], s[30:31], v[163:164]
	v_add_f64 v[167:168], v[169:170], v[167:168]
	v_add_f64 v[100:101], v[143:144], v[100:101]
	;; [unrolled: 1-line block ×3, first 2 shown]
	v_fma_f64 v[143:144], v[149:150], s[34:35], v[163:164]
	v_mul_f64 v[145:146], v[155:156], s[4:5]
	v_fma_f64 v[163:164], v[149:150], s[36:37], v[157:158]
	v_add_f64 v[169:170], v[104:105], v[96:97]
	v_mul_f64 v[155:156], v[155:156], s[20:21]
	v_fma_f64 v[157:158], v[149:150], s[14:15], v[157:158]
	v_add_f64 v[147:148], v[171:172], v[147:148]
	v_add_f64 v[159:160], v[173:174], v[159:160]
	;; [unrolled: 1-line block ×3, first 2 shown]
	v_fma_f64 v[143:144], v[149:150], s[16:17], v[145:146]
	v_add_f64 v[161:162], v[163:164], v[161:162]
	v_fma_f64 v[145:146], v[149:150], s[22:23], v[145:146]
	v_add_f64 v[163:164], v[98:99], -v[106:107]
	v_mul_f64 v[171:172], v[169:170], s[20:21]
	v_fma_f64 v[173:174], v[149:150], s[38:39], v[155:156]
	v_add_f64 v[151:152], v[157:158], v[151:152]
	v_add_f64 v[157:158], v[76:77], v[64:65]
	;; [unrolled: 1-line block ×3, first 2 shown]
	v_mul_f64 v[165:166], v[169:170], s[8:9]
	v_fma_f64 v[149:150], v[149:150], s[24:25], v[155:156]
	v_add_f64 v[145:146], v[145:146], v[153:154]
	v_fma_f64 v[153:154], v[163:164], s[38:39], v[171:172]
	v_add_f64 v[155:156], v[173:174], v[167:168]
	;; [unrolled: 2-line block ×3, first 2 shown]
	v_mul_f64 v[171:172], v[169:170], s[4:5]
	v_fma_f64 v[173:174], v[163:164], s[18:19], v[165:166]
	v_fma_f64 v[165:166], v[163:164], s[28:29], v[165:166]
	v_add_f64 v[100:101], v[149:150], v[100:101]
	v_mul_f64 v[149:150], v[169:170], s[26:27]
	v_add_f64 v[141:142], v[153:154], v[141:142]
	v_add_f64 v[147:148], v[167:168], v[147:148]
	;; [unrolled: 1-line block ×3, first 2 shown]
	v_fma_f64 v[157:158], v[163:164], s[16:17], v[171:172]
	v_fma_f64 v[167:168], v[163:164], s[22:23], v[171:172]
	v_add_f64 v[139:140], v[165:166], v[139:140]
	v_add_f64 v[165:166], v[92:93], v[88:89]
	v_fma_f64 v[171:172], v[163:164], s[34:35], v[149:150]
	v_mul_f64 v[169:170], v[169:170], s[6:7]
	v_add_f64 v[159:160], v[173:174], v[159:160]
	v_fma_f64 v[149:150], v[163:164], s[30:31], v[149:150]
	v_add_f64 v[157:158], v[157:158], v[161:162]
	v_add_f64 v[161:162], v[90:91], -v[94:95]
	v_add_f64 v[151:152], v[167:168], v[151:152]
	v_mul_f64 v[173:174], v[165:166], s[26:27]
	v_add_f64 v[143:144], v[171:172], v[143:144]
	v_fma_f64 v[167:168], v[163:164], s[36:37], v[169:170]
	v_mul_f64 v[171:172], v[165:166], s[4:5]
	v_fma_f64 v[163:164], v[163:164], s[14:15], v[169:170]
	v_add_f64 v[145:146], v[149:150], v[145:146]
	s_waitcnt vmcnt(0)
	v_add_f64 v[179:180], v[70:71], -v[82:83]
	v_add_f64 v[137:138], v[120:121], v[137:138]
	v_fma_f64 v[149:150], v[161:162], s[34:35], v[173:174]
	v_fma_f64 v[169:170], v[161:162], s[30:31], v[173:174]
	v_mul_f64 v[173:174], v[165:166], s[20:21]
	v_add_f64 v[155:156], v[167:168], v[155:156]
	v_fma_f64 v[167:168], v[161:162], s[22:23], v[171:172]
	v_add_f64 v[100:101], v[163:164], v[100:101]
	v_fma_f64 v[163:164], v[161:162], s[16:17], v[171:172]
	v_add_f64 v[171:172], v[78:79], -v[86:87]
	v_add_f64 v[141:142], v[149:150], v[141:142]
	v_add_f64 v[147:148], v[169:170], v[147:148]
	v_fma_f64 v[149:150], v[161:162], s[38:39], v[173:174]
	v_mul_f64 v[169:170], v[165:166], s[6:7]
	v_add_f64 v[159:160], v[167:168], v[159:160]
	v_add_f64 v[167:168], v[84:85], v[76:77]
	;; [unrolled: 1-line block ×3, first 2 shown]
	v_fma_f64 v[163:164], v[161:162], s[24:25], v[173:174]
	v_mul_f64 v[165:166], v[165:166], s[8:9]
	v_add_f64 v[137:138], v[116:117], v[137:138]
	v_add_f64 v[149:150], v[149:150], v[157:158]
	v_fma_f64 v[157:158], v[161:162], s[36:37], v[169:170]
	v_fma_f64 v[169:170], v[161:162], s[14:15], v[169:170]
	v_mul_f64 v[173:174], v[167:168], s[4:5]
	v_mul_f64 v[175:176], v[167:168], s[20:21]
	v_add_f64 v[151:152], v[163:164], v[151:152]
	v_fma_f64 v[163:164], v[161:162], s[28:29], v[165:166]
	v_fma_f64 v[161:162], v[161:162], s[18:19], v[165:166]
	v_mul_f64 v[165:166], v[167:168], s[6:7]
	v_add_f64 v[143:144], v[157:158], v[143:144]
	v_add_f64 v[145:146], v[169:170], v[145:146]
	v_fma_f64 v[157:158], v[171:172], s[16:17], v[173:174]
	v_fma_f64 v[169:170], v[171:172], s[22:23], v[173:174]
	v_add_f64 v[173:174], v[80:81], v[68:69]
	v_add_f64 v[155:156], v[163:164], v[155:156]
	v_mul_f64 v[163:164], v[167:168], s[8:9]
	v_mul_f64 v[167:168], v[167:168], s[26:27]
	v_add_f64 v[161:162], v[161:162], v[100:101]
	v_fma_f64 v[100:101], v[171:172], s[14:15], v[165:166]
	v_add_f64 v[157:158], v[64:65], v[157:158]
	v_fma_f64 v[165:166], v[171:172], s[36:37], v[165:166]
	v_mul_f64 v[181:182], v[173:174], s[6:7]
	v_add_f64 v[169:170], v[64:65], v[169:170]
	v_fma_f64 v[177:178], v[171:172], s[28:29], v[163:164]
	v_fma_f64 v[163:164], v[171:172], s[18:19], v[163:164]
	;; [unrolled: 1-line block ×5, first 2 shown]
	v_mul_f64 v[187:188], v[173:174], s[20:21]
	v_fma_f64 v[167:168], v[171:172], s[30:31], v[167:168]
	v_fma_f64 v[171:172], v[179:180], s[14:15], v[181:182]
	;; [unrolled: 1-line block ×3, first 2 shown]
	v_mul_f64 v[189:190], v[173:174], s[26:27]
	v_add_f64 v[100:101], v[64:65], v[100:101]
	v_add_f64 v[165:166], v[64:65], v[165:166]
	;; [unrolled: 1-line block ×7, first 2 shown]
	v_fma_f64 v[191:192], v[179:180], s[38:39], v[187:188]
	v_add_f64 v[64:65], v[64:65], v[167:168]
	v_add_f64 v[157:158], v[171:172], v[157:158]
	v_fma_f64 v[167:168], v[179:180], s[24:25], v[187:188]
	v_mul_f64 v[171:172], v[173:174], s[8:9]
	v_add_f64 v[169:170], v[181:182], v[169:170]
	v_add_f64 v[181:182], v[72:73], v[60:61]
	v_fma_f64 v[187:188], v[179:180], s[30:31], v[189:190]
	v_mul_f64 v[173:174], v[173:174], s[4:5]
	v_fma_f64 v[189:190], v[179:180], s[34:35], v[189:190]
	v_add_f64 v[100:101], v[191:192], v[100:101]
	v_add_f64 v[165:166], v[167:168], v[165:166]
	v_fma_f64 v[167:168], v[179:180], s[18:19], v[171:172]
	v_add_f64 v[191:192], v[62:63], -v[74:75]
	v_mul_f64 v[193:194], v[181:182], s[8:9]
	v_add_f64 v[177:178], v[187:188], v[177:178]
	v_fma_f64 v[171:172], v[179:180], s[28:29], v[171:172]
	v_fma_f64 v[187:188], v[179:180], s[22:23], v[173:174]
	v_add_f64 v[163:164], v[189:190], v[163:164]
	v_mul_f64 v[189:190], v[181:182], s[26:27]
	v_fma_f64 v[173:174], v[179:180], s[16:17], v[173:174]
	v_add_f64 v[167:168], v[167:168], v[183:184]
	v_fma_f64 v[179:180], v[191:192], s[28:29], v[193:194]
	v_fma_f64 v[183:184], v[191:192], s[18:19], v[193:194]
	v_add_f64 v[171:172], v[171:172], v[175:176]
	v_add_f64 v[175:176], v[187:188], v[185:186]
	v_mul_f64 v[185:186], v[181:182], s[6:7]
	v_fma_f64 v[187:188], v[191:192], s[30:31], v[189:190]
	v_fma_f64 v[189:190], v[191:192], s[34:35], v[189:190]
	v_add_f64 v[64:65], v[173:174], v[64:65]
	v_add_f64 v[173:174], v[56:57], v[52:53]
	;; [unrolled: 1-line block ×4, first 2 shown]
	v_mul_f64 v[179:180], v[181:182], s[4:5]
	v_fma_f64 v[183:184], v[191:192], s[36:37], v[185:186]
	v_add_f64 v[100:101], v[187:188], v[100:101]
	v_add_f64 v[165:166], v[189:190], v[165:166]
	v_fma_f64 v[185:186], v[191:192], s[14:15], v[185:186]
	v_add_f64 v[187:188], v[54:55], -v[58:59]
	v_mul_f64 v[189:190], v[173:174], s[20:21]
	v_add_f64 v[137:138], v[96:97], v[137:138]
	v_add_f64 v[153:154], v[52:53], v[153:154]
	v_mul_f64 v[181:182], v[181:182], s[20:21]
	v_fma_f64 v[193:194], v[191:192], s[16:17], v[179:180]
	v_add_f64 v[177:178], v[183:184], v[177:178]
	v_fma_f64 v[179:180], v[191:192], s[22:23], v[179:180]
	v_mul_f64 v[183:184], v[173:174], s[8:9]
	v_add_f64 v[163:164], v[185:186], v[163:164]
	v_fma_f64 v[185:186], v[187:188], s[38:39], v[189:190]
	v_add_f64 v[137:138], v[88:89], v[137:138]
	v_add_f64 v[153:154], v[44:45], v[153:154]
	v_fma_f64 v[195:196], v[191:192], s[38:39], v[181:182]
	v_fma_f64 v[181:182], v[191:192], s[24:25], v[181:182]
	v_add_f64 v[171:172], v[179:180], v[171:172]
	v_fma_f64 v[179:180], v[187:188], s[18:19], v[183:184]
	v_mul_f64 v[191:192], v[173:174], s[4:5]
	v_add_f64 v[157:158], v[185:186], v[157:158]
	v_add_f64 v[185:186], v[48:49], v[44:45]
	;; [unrolled: 1-line block ×5, first 2 shown]
	v_fma_f64 v[189:190], v[187:188], s[24:25], v[189:190]
	v_add_f64 v[175:176], v[195:196], v[175:176]
	v_add_f64 v[64:65], v[181:182], v[64:65]
	v_mul_f64 v[181:182], v[173:174], s[26:27]
	v_add_f64 v[100:101], v[179:180], v[100:101]
	v_fma_f64 v[179:180], v[187:188], s[28:29], v[183:184]
	v_fma_f64 v[183:184], v[187:188], s[16:17], v[191:192]
	v_mul_f64 v[173:174], v[173:174], s[6:7]
	v_add_f64 v[193:194], v[46:47], -v[50:51]
	v_mul_f64 v[195:196], v[185:186], s[26:27]
	v_add_f64 v[137:138], v[104:105], v[137:138]
	v_add_f64 v[153:154], v[56:57], v[153:154]
	;; [unrolled: 1-line block ×3, first 2 shown]
	v_fma_f64 v[189:190], v[187:188], s[22:23], v[191:192]
	v_fma_f64 v[191:192], v[187:188], s[34:35], v[181:182]
	;; [unrolled: 1-line block ×3, first 2 shown]
	v_add_f64 v[165:166], v[179:180], v[165:166]
	v_add_f64 v[177:178], v[183:184], v[177:178]
	v_fma_f64 v[179:180], v[187:188], s[36:37], v[173:174]
	v_fma_f64 v[173:174], v[187:188], s[14:15], v[173:174]
	;; [unrolled: 1-line block ×3, first 2 shown]
	v_add_f64 v[137:138], v[124:125], v[137:138]
	v_add_f64 v[153:154], v[72:73], v[153:154]
	;; [unrolled: 1-line block ×3, first 2 shown]
	v_fma_f64 v[181:182], v[193:194], s[30:31], v[195:196]
	v_mul_f64 v[187:188], v[185:186], s[4:5]
	v_add_f64 v[175:176], v[179:180], v[175:176]
	v_mul_f64 v[179:180], v[185:186], s[20:21]
	v_add_f64 v[64:65], v[173:174], v[64:65]
	v_mul_f64 v[173:174], v[185:186], s[6:7]
	v_add_f64 v[157:158], v[183:184], v[157:158]
	v_mul_f64 v[183:184], v[185:186], s[8:9]
	v_add_f64 v[137:138], v[112:113], v[137:138]
	v_add_f64 v[153:154], v[80:81], v[153:154]
	v_add_f64 v[163:164], v[189:190], v[163:164]
	;; [unrolled: 1-line block ×4, first 2 shown]
	v_fma_f64 v[181:182], v[193:194], s[22:23], v[187:188]
	v_fma_f64 v[185:186], v[193:194], s[16:17], v[187:188]
	;; [unrolled: 1-line block ×8, first 2 shown]
	v_add_f64 v[137:138], v[108:109], v[137:138]
	v_add_f64 v[153:154], v[84:85], v[153:154]
	;; [unrolled: 1-line block ×10, first 2 shown]
	s_movk_i32 s33, 0x58
	v_mad_u32_u24 v101, v136, s33, 0
	ds_write2_b64 v101, v[137:138], v[141:142] offset1:1
	ds_write2_b64 v101, v[159:160], v[149:150] offset0:2 offset1:3
	ds_write2_b64 v101, v[143:144], v[155:156] offset0:4 offset1:5
	;; [unrolled: 1-line block ×4, first 2 shown]
	ds_write_b64 v101, v[147:148] offset:80
	v_add_u32_e32 v137, 0x12e8, v101
	v_add_u32_e32 v138, 0x12f8, v101
	;; [unrolled: 1-line block ×5, first 2 shown]
	v_cmp_gt_u32_e32 vcc, 15, v136
	ds_write2_b64 v137, v[153:154], v[157:158] offset1:1
	ds_write2_b64 v138, v[181:182], v[177:178] offset1:1
	;; [unrolled: 1-line block ×5, first 2 shown]
	ds_write_b64 v101, v[169:170] offset:4920
	s_and_saveexec_b64 s[38:39], vcc
	s_cbranch_execz .LBB0_17
; %bb.16:
	v_add_f64 v[64:65], v[42:43], -v[38:39]
	v_add_f64 v[146:147], v[30:31], -v[34:35]
	v_add_f64 v[150:151], v[36:37], v[40:41]
	v_add_f64 v[158:159], v[22:23], -v[26:27]
	v_add_f64 v[160:161], v[32:33], v[28:29]
	;; [unrolled: 2-line block ×3, first 2 shown]
	v_add_f64 v[144:145], v[2:3], -v[6:7]
	v_mul_f64 v[152:153], v[64:65], s[30:31]
	v_mul_f64 v[156:157], v[64:65], s[24:25]
	;; [unrolled: 1-line block ×5, first 2 shown]
	v_add_f64 v[148:149], v[16:17], v[8:9]
	v_mul_f64 v[174:175], v[158:159], s[22:23]
	v_mul_f64 v[180:181], v[154:155], s[14:15]
	v_fma_f64 v[168:169], v[150:151], s[26:27], v[152:153]
	v_fma_f64 v[152:153], v[150:151], s[26:27], -v[152:153]
	v_fma_f64 v[170:171], v[150:151], s[20:21], v[156:157]
	v_fma_f64 v[176:177], v[160:161], s[4:5], v[162:163]
	v_fma_f64 v[162:163], v[160:161], s[4:5], -v[162:163]
	v_fma_f64 v[178:179], v[160:161], s[8:9], v[166:167]
	v_fma_f64 v[184:185], v[164:165], s[20:21], v[172:173]
	v_fma_f64 v[172:173], v[164:165], s[20:21], -v[172:173]
	v_add_f64 v[168:169], v[12:13], v[168:169]
	v_add_f64 v[152:153], v[12:13], v[152:153]
	;; [unrolled: 1-line block ×4, first 2 shown]
	v_mul_f64 v[182:183], v[154:155], s[30:31]
	v_fma_f64 v[186:187], v[164:165], s[4:5], v[174:175]
	v_fma_f64 v[156:157], v[150:151], s[20:21], -v[156:157]
	v_fma_f64 v[166:167], v[160:161], s[8:9], -v[166:167]
	v_add_f64 v[168:169], v[176:177], v[168:169]
	v_add_f64 v[152:153], v[162:163], v[152:153]
	;; [unrolled: 1-line block ×3, first 2 shown]
	v_mul_f64 v[170:171], v[144:145], s[18:19]
	v_fma_f64 v[178:179], v[148:149], s[6:7], v[180:181]
	v_fma_f64 v[180:181], v[148:149], s[6:7], -v[180:181]
	v_mul_f64 v[176:177], v[144:145], s[14:15]
	v_fma_f64 v[188:189], v[148:149], s[26:27], v[182:183]
	v_add_f64 v[168:169], v[184:185], v[168:169]
	v_add_f64 v[152:153], v[172:173], v[152:153]
	v_mul_f64 v[172:173], v[64:65], s[18:19]
	v_add_f64 v[162:163], v[186:187], v[162:163]
	v_fma_f64 v[184:185], v[142:143], s[8:9], v[170:171]
	v_fma_f64 v[170:171], v[142:143], s[8:9], -v[170:171]
	v_add_f64 v[156:157], v[12:13], v[156:157]
	v_fma_f64 v[186:187], v[142:143], s[6:7], v[176:177]
	v_add_f64 v[168:169], v[178:179], v[168:169]
	v_add_f64 v[152:153], v[180:181], v[152:153]
	v_mul_f64 v[178:179], v[146:147], s[34:35]
	v_fma_f64 v[180:181], v[150:151], s[8:9], v[172:173]
	v_fma_f64 v[172:173], v[150:151], s[8:9], -v[172:173]
	v_add_f64 v[162:163], v[188:189], v[162:163]
	v_fma_f64 v[174:175], v[164:165], s[4:5], -v[174:175]
	v_add_f64 v[156:157], v[166:167], v[156:157]
	v_add_f64 v[168:169], v[184:185], v[168:169]
	;; [unrolled: 1-line block ×3, first 2 shown]
	v_mul_f64 v[170:171], v[158:159], s[14:15]
	v_fma_f64 v[184:185], v[160:161], s[26:27], v[178:179]
	v_add_f64 v[180:181], v[12:13], v[180:181]
	v_fma_f64 v[178:179], v[160:161], s[26:27], -v[178:179]
	v_add_f64 v[172:173], v[12:13], v[172:173]
	v_add_f64 v[188:189], v[40:41], v[12:13]
	;; [unrolled: 1-line block ×3, first 2 shown]
	v_mul_f64 v[166:167], v[154:155], s[22:23]
	v_fma_f64 v[186:187], v[164:165], s[6:7], v[170:171]
	v_fma_f64 v[182:183], v[148:149], s[26:27], -v[182:183]
	v_add_f64 v[180:181], v[184:185], v[180:181]
	v_add_f64 v[156:157], v[174:175], v[156:157]
	v_fma_f64 v[170:171], v[164:165], s[6:7], -v[170:171]
	v_add_f64 v[172:173], v[178:179], v[172:173]
	v_add_f64 v[184:185], v[28:29], v[188:189]
	v_fma_f64 v[178:179], v[148:149], s[4:5], v[166:167]
	v_fma_f64 v[166:167], v[148:149], s[4:5], -v[166:167]
	v_mul_f64 v[188:189], v[154:155], s[28:29]
	v_add_f64 v[180:181], v[186:187], v[180:181]
	v_mul_f64 v[186:187], v[64:65], s[36:37]
	v_add_f64 v[156:157], v[182:183], v[156:157]
	v_add_f64 v[170:171], v[170:171], v[172:173]
	;; [unrolled: 1-line block ×3, first 2 shown]
	v_mul_f64 v[64:65], v[64:65], s[22:23]
	v_mul_f64 v[154:155], v[154:155], s[24:25]
	;; [unrolled: 1-line block ×3, first 2 shown]
	v_add_f64 v[178:179], v[178:179], v[180:181]
	v_mul_f64 v[180:181], v[146:147], s[24:25]
	v_fma_f64 v[184:185], v[150:151], s[6:7], v[186:187]
	v_add_f64 v[166:167], v[166:167], v[170:171]
	v_add_f64 v[170:171], v[8:9], v[182:183]
	v_mul_f64 v[146:147], v[146:147], s[36:37]
	v_fma_f64 v[196:197], v[150:151], s[4:5], -v[64:65]
	v_fma_f64 v[186:187], v[150:151], s[6:7], -v[186:187]
	v_fma_f64 v[64:65], v[150:151], s[4:5], v[64:65]
	v_fma_f64 v[190:191], v[160:161], s[20:21], v[180:181]
	v_add_f64 v[184:185], v[12:13], v[184:185]
	v_mul_f64 v[182:183], v[158:159], s[34:35]
	v_add_f64 v[170:171], v[0:1], v[170:171]
	v_mul_f64 v[158:159], v[158:159], s[18:19]
	v_fma_f64 v[150:151], v[160:161], s[6:7], -v[146:147]
	v_fma_f64 v[180:181], v[160:161], s[20:21], -v[180:181]
	v_add_f64 v[186:187], v[12:13], v[186:187]
	v_fma_f64 v[146:147], v[160:161], s[6:7], v[146:147]
	v_add_f64 v[184:185], v[190:191], v[184:185]
	v_add_f64 v[190:191], v[12:13], v[196:197]
	;; [unrolled: 1-line block ×4, first 2 shown]
	v_fma_f64 v[64:65], v[164:165], s[8:9], -v[158:159]
	v_fma_f64 v[198:199], v[164:165], s[26:27], v[182:183]
	v_add_f64 v[180:181], v[180:181], v[186:187]
	v_fma_f64 v[158:159], v[164:165], s[8:9], v[158:159]
	v_mul_f64 v[192:193], v[144:145], s[16:17]
	v_add_f64 v[150:151], v[150:151], v[190:191]
	v_add_f64 v[160:161], v[16:17], v[170:171]
	v_fma_f64 v[170:171], v[164:165], s[26:27], -v[182:183]
	v_add_f64 v[12:13], v[146:147], v[12:13]
	v_mul_f64 v[144:145], v[144:145], s[30:31]
	v_fma_f64 v[146:147], v[148:149], s[20:21], -v[154:155]
	v_fma_f64 v[194:195], v[148:149], s[8:9], v[188:189]
	v_fma_f64 v[172:173], v[142:143], s[20:21], v[174:175]
	v_add_f64 v[64:65], v[64:65], v[150:151]
	v_add_f64 v[150:151], v[24:25], v[160:161]
	v_fma_f64 v[160:161], v[148:149], s[8:9], -v[188:189]
	v_add_f64 v[164:165], v[170:171], v[180:181]
	v_add_f64 v[170:171], v[198:199], v[184:185]
	v_fma_f64 v[148:149], v[148:149], s[20:21], v[154:155]
	v_add_f64 v[12:13], v[158:159], v[12:13]
	v_fma_f64 v[154:155], v[142:143], s[26:27], -v[144:145]
	v_add_f64 v[64:65], v[146:147], v[64:65]
	v_add_f64 v[146:147], v[32:33], v[150:151]
	v_fma_f64 v[174:175], v[142:143], s[20:21], -v[174:175]
	v_fma_f64 v[150:151], v[142:143], s[4:5], -v[192:193]
	v_add_f64 v[158:159], v[160:161], v[164:165]
	v_fma_f64 v[176:177], v[142:143], s[6:7], -v[176:177]
	v_fma_f64 v[160:161], v[142:143], s[4:5], v[192:193]
	v_add_f64 v[164:165], v[194:195], v[170:171]
	v_fma_f64 v[142:143], v[142:143], s[26:27], v[144:145]
	v_add_f64 v[12:13], v[148:149], v[12:13]
	v_add_f64 v[64:65], v[154:155], v[64:65]
	;; [unrolled: 1-line block ×9, first 2 shown]
	v_add_u32_e32 v100, 0x25d0, v101
	ds_write2_b64 v100, v[144:145], v[64:65] offset1:1
	v_add_u32_e32 v64, 0x25e0, v101
	ds_write2_b64 v64, v[148:149], v[146:147] offset1:1
	;; [unrolled: 2-line block ×5, first 2 shown]
	ds_write_b64 v101, v[12:13] offset:9760
.LBB0_17:
	s_or_b64 exec, exec, s[38:39]
	v_add_f64 v[12:13], v[130:131], v[102:103]
	v_add_f64 v[64:65], v[128:129], -v[108:109]
	v_add_f64 v[108:109], v[110:111], v[130:131]
	v_add_f64 v[128:129], v[114:115], v[122:123]
	v_add_f64 v[112:113], v[120:121], -v[112:113]
	v_add_f64 v[116:117], v[116:117], -v[124:125]
	v_add_f64 v[120:121], v[126:127], v[118:119]
	v_add_f64 v[96:97], v[96:97], -v[104:105]
	v_add_f64 v[12:13], v[122:123], v[12:13]
	v_mul_f64 v[122:123], v[64:65], s[22:23]
	v_mul_f64 v[124:125], v[64:65], s[36:37]
	v_mul_f64 v[130:131], v[64:65], s[18:19]
	v_mul_f64 v[142:143], v[64:65], s[24:25]
	v_mul_f64 v[64:65], v[64:65], s[30:31]
	v_mul_f64 v[144:145], v[112:113], s[36:37]
	v_mul_f64 v[146:147], v[112:113], s[24:25]
	v_add_f64 v[12:13], v[118:119], v[12:13]
	v_fma_f64 v[156:157], v[108:109], s[4:5], v[122:123]
	v_mul_f64 v[148:149], v[112:113], s[34:35]
	v_mul_f64 v[118:119], v[112:113], s[28:29]
	;; [unrolled: 1-line block ×4, first 2 shown]
	v_fma_f64 v[122:123], v[108:109], s[4:5], -v[122:123]
	v_fma_f64 v[158:159], v[108:109], s[6:7], v[124:125]
	v_add_f64 v[12:13], v[98:99], v[12:13]
	v_fma_f64 v[124:125], v[108:109], s[6:7], -v[124:125]
	v_fma_f64 v[160:161], v[108:109], s[8:9], v[130:131]
	v_fma_f64 v[130:131], v[108:109], s[8:9], -v[130:131]
	v_fma_f64 v[162:163], v[108:109], s[20:21], v[142:143]
	;; [unrolled: 2-line block ×3, first 2 shown]
	v_fma_f64 v[64:65], v[108:109], s[26:27], -v[64:65]
	v_add_f64 v[12:13], v[90:91], v[12:13]
	v_fma_f64 v[108:109], v[128:129], s[6:7], v[144:145]
	v_add_f64 v[156:157], v[102:103], v[156:157]
	v_mul_f64 v[152:153], v[116:117], s[34:35]
	v_mul_f64 v[154:155], v[116:117], s[14:15]
	v_fma_f64 v[144:145], v[128:129], s[6:7], -v[144:145]
	v_fma_f64 v[166:167], v[128:129], s[20:21], v[146:147]
	v_fma_f64 v[146:147], v[128:129], s[20:21], -v[146:147]
	v_add_f64 v[12:13], v[94:95], v[12:13]
	v_fma_f64 v[168:169], v[128:129], s[26:27], v[148:149]
	v_fma_f64 v[148:149], v[128:129], s[26:27], -v[148:149]
	v_fma_f64 v[170:171], v[128:129], s[8:9], v[118:119]
	v_fma_f64 v[118:119], v[128:129], s[8:9], -v[118:119]
	;; [unrolled: 2-line block ×3, first 2 shown]
	v_fma_f64 v[128:129], v[120:121], s[8:9], v[150:151]
	v_add_f64 v[12:13], v[106:107], v[12:13]
	v_add_f64 v[122:123], v[102:103], v[122:123]
	;; [unrolled: 1-line block ×14, first 2 shown]
	v_mul_f64 v[104:105], v[116:117], s[24:25]
	v_add_f64 v[64:65], v[112:113], v[64:65]
	v_add_f64 v[12:13], v[114:115], v[12:13]
	;; [unrolled: 1-line block ×3, first 2 shown]
	v_mul_f64 v[112:113], v[116:117], s[22:23]
	v_add_f64 v[102:103], v[128:129], v[102:103]
	v_fma_f64 v[128:129], v[120:121], s[6:7], v[154:155]
	v_fma_f64 v[116:117], v[120:121], s[6:7], -v[154:155]
	v_fma_f64 v[150:151], v[120:121], s[8:9], -v[150:151]
	v_add_f64 v[108:109], v[144:145], v[122:123]
	v_add_f64 v[110:111], v[110:111], v[12:13]
	v_fma_f64 v[12:13], v[120:121], s[26:27], -v[152:153]
	v_add_f64 v[118:119], v[118:119], v[126:127]
	v_add_f64 v[126:127], v[172:173], v[142:143]
	;; [unrolled: 1-line block ×4, first 2 shown]
	v_mul_f64 v[106:107], v[96:97], s[24:25]
	v_fma_f64 v[128:129], v[120:121], s[20:21], v[104:105]
	v_add_f64 v[116:117], v[116:117], v[130:131]
	v_add_f64 v[12:13], v[12:13], v[124:125]
	v_fma_f64 v[124:125], v[120:121], s[4:5], v[112:113]
	v_fma_f64 v[112:113], v[120:121], s[4:5], -v[112:113]
	v_add_f64 v[130:131], v[78:79], v[66:67]
	v_fma_f64 v[174:175], v[120:121], s[26:27], v[152:153]
	v_add_f64 v[108:109], v[150:151], v[108:109]
	v_fma_f64 v[104:105], v[120:121], s[20:21], -v[104:105]
	v_add_f64 v[120:121], v[128:129], v[126:127]
	v_add_f64 v[144:145], v[170:171], v[162:163]
	v_mul_f64 v[128:129], v[96:97], s[22:23]
	v_add_f64 v[112:113], v[112:113], v[118:119]
	v_fma_f64 v[118:119], v[98:99], s[20:21], v[106:107]
	v_fma_f64 v[106:107], v[98:99], s[20:21], -v[106:107]
	v_add_f64 v[126:127], v[70:71], v[130:131]
	v_add_f64 v[64:65], v[104:105], v[64:65]
	v_mul_f64 v[104:105], v[96:97], s[30:31]
	v_add_f64 v[122:123], v[166:167], v[158:159]
	v_add_f64 v[124:125], v[124:125], v[144:145]
	v_mul_f64 v[142:143], v[96:97], s[28:29]
	v_add_f64 v[102:103], v[118:119], v[102:103]
	v_add_f64 v[106:107], v[106:107], v[108:109]
	;; [unrolled: 1-line block ×3, first 2 shown]
	v_fma_f64 v[118:119], v[98:99], s[4:5], v[128:129]
	v_add_f64 v[88:89], v[88:89], -v[92:93]
	v_fma_f64 v[92:93], v[98:99], s[4:5], -v[128:129]
	v_fma_f64 v[126:127], v[98:99], s[26:27], v[104:105]
	v_mul_f64 v[96:97], v[96:97], s[14:15]
	v_add_f64 v[122:123], v[174:175], v[122:123]
	v_fma_f64 v[130:131], v[98:99], s[8:9], v[142:143]
	v_add_f64 v[108:109], v[54:55], v[108:109]
	v_fma_f64 v[142:143], v[98:99], s[8:9], -v[142:143]
	v_add_f64 v[114:115], v[118:119], v[114:115]
	v_fma_f64 v[104:105], v[98:99], s[26:27], -v[104:105]
	v_add_f64 v[90:91], v[94:95], v[90:91]
	v_mul_f64 v[94:95], v[88:89], s[30:31]
	v_add_f64 v[92:93], v[92:93], v[116:117]
	v_add_f64 v[116:117], v[126:127], v[124:125]
	v_fma_f64 v[118:119], v[98:99], s[6:7], v[96:97]
	v_add_f64 v[108:109], v[46:47], v[108:109]
	v_mul_f64 v[124:125], v[88:89], s[16:17]
	v_fma_f64 v[96:97], v[98:99], s[6:7], -v[96:97]
	v_add_f64 v[122:123], v[130:131], v[122:123]
	v_add_f64 v[12:13], v[142:143], v[12:13]
	;; [unrolled: 1-line block ×3, first 2 shown]
	v_fma_f64 v[104:105], v[90:91], s[26:27], v[94:95]
	v_fma_f64 v[94:95], v[90:91], s[26:27], -v[94:95]
	v_mul_f64 v[112:113], v[88:89], s[24:25]
	v_add_f64 v[118:119], v[118:119], v[120:121]
	v_add_f64 v[108:109], v[50:51], v[108:109]
	v_fma_f64 v[120:121], v[90:91], s[4:5], v[124:125]
	v_add_f64 v[64:65], v[96:97], v[64:65]
	v_fma_f64 v[96:97], v[90:91], s[4:5], -v[124:125]
	v_add_f64 v[102:103], v[104:105], v[102:103]
	v_add_f64 v[104:105], v[94:95], v[106:107]
	v_fma_f64 v[94:95], v[90:91], s[20:21], v[112:113]
	v_mul_f64 v[106:107], v[88:89], s[14:15]
	v_add_f64 v[108:109], v[58:59], v[108:109]
	v_add_f64 v[120:121], v[120:121], v[122:123]
	v_add_f64 v[76:77], v[76:77], -v[84:85]
	v_add_f64 v[122:123], v[96:97], v[12:13]
	v_fma_f64 v[12:13], v[90:91], s[20:21], -v[112:113]
	v_mul_f64 v[84:85], v[88:89], s[18:19]
	v_add_f64 v[112:113], v[94:95], v[114:115]
	v_fma_f64 v[88:89], v[90:91], s[6:7], v[106:107]
	v_add_f64 v[94:95], v[74:75], v[108:109]
	v_add_f64 v[78:79], v[86:87], v[78:79]
	v_mul_f64 v[96:97], v[76:77], s[22:23]
	v_add_f64 v[68:69], v[68:69], -v[80:81]
	v_add_f64 v[108:109], v[12:13], v[92:93]
	v_fma_f64 v[12:13], v[90:91], s[8:9], v[84:85]
	v_fma_f64 v[84:85], v[90:91], s[8:9], -v[84:85]
	v_fma_f64 v[106:107], v[90:91], s[6:7], -v[106:107]
	v_mul_f64 v[90:91], v[76:77], s[36:37]
	v_add_f64 v[114:115], v[88:89], v[116:117]
	v_add_f64 v[88:89], v[82:83], v[94:95]
	v_fma_f64 v[92:93], v[78:79], s[4:5], v[96:97]
	v_fma_f64 v[94:95], v[78:79], s[4:5], -v[96:97]
	v_add_f64 v[116:117], v[12:13], v[118:119]
	v_add_f64 v[118:119], v[84:85], v[64:65]
	v_mul_f64 v[64:65], v[76:77], s[18:19]
	v_mul_f64 v[80:81], v[76:77], s[24:25]
	;; [unrolled: 1-line block ×3, first 2 shown]
	v_add_f64 v[70:71], v[82:83], v[70:71]
	v_mul_f64 v[82:83], v[68:69], s[36:37]
	v_add_f64 v[106:107], v[106:107], v[98:99]
	v_fma_f64 v[12:13], v[78:79], s[6:7], v[90:91]
	v_add_f64 v[124:125], v[86:87], v[88:89]
	v_add_f64 v[84:85], v[66:67], v[92:93]
	v_fma_f64 v[86:87], v[78:79], s[6:7], -v[90:91]
	v_add_f64 v[88:89], v[66:67], v[94:95]
	v_fma_f64 v[90:91], v[78:79], s[8:9], v[64:65]
	v_fma_f64 v[64:65], v[78:79], s[8:9], -v[64:65]
	v_fma_f64 v[92:93], v[78:79], s[20:21], v[80:81]
	v_fma_f64 v[80:81], v[78:79], s[20:21], -v[80:81]
	v_fma_f64 v[94:95], v[78:79], s[26:27], v[76:77]
	v_mul_f64 v[96:97], v[68:69], s[24:25]
	v_fma_f64 v[76:77], v[78:79], s[26:27], -v[76:77]
	v_fma_f64 v[78:79], v[70:71], s[6:7], v[82:83]
	v_fma_f64 v[82:83], v[70:71], s[6:7], -v[82:83]
	v_mul_f64 v[98:99], v[68:69], s[34:35]
	v_add_f64 v[12:13], v[66:67], v[12:13]
	v_add_f64 v[86:87], v[66:67], v[86:87]
	;; [unrolled: 1-line block ×9, first 2 shown]
	v_fma_f64 v[78:79], v[70:71], s[20:21], -v[96:97]
	v_mul_f64 v[84:85], v[68:69], s[28:29]
	v_add_f64 v[82:83], v[82:83], v[88:89]
	v_add_f64 v[60:61], v[60:61], -v[72:73]
	v_fma_f64 v[72:73], v[70:71], s[26:27], v[98:99]
	v_mul_f64 v[68:69], v[68:69], s[16:17]
	v_fma_f64 v[88:89], v[70:71], s[26:27], -v[98:99]
	v_add_f64 v[62:63], v[74:75], v[62:63]
	v_add_f64 v[78:79], v[78:79], v[86:87]
	v_fma_f64 v[86:87], v[70:71], s[8:9], v[84:85]
	v_fma_f64 v[84:85], v[70:71], s[8:9], -v[84:85]
	v_mul_f64 v[74:75], v[60:61], s[18:19]
	v_add_f64 v[72:73], v[72:73], v[90:91]
	v_fma_f64 v[90:91], v[70:71], s[4:5], v[68:69]
	v_add_f64 v[64:65], v[88:89], v[64:65]
	v_mul_f64 v[88:89], v[60:61], s[34:35]
	v_fma_f64 v[126:127], v[70:71], s[20:21], v[96:97]
	v_add_f64 v[86:87], v[86:87], v[92:93]
	v_fma_f64 v[68:69], v[70:71], s[4:5], -v[68:69]
	v_fma_f64 v[70:71], v[62:63], s[8:9], v[74:75]
	v_fma_f64 v[74:75], v[62:63], s[8:9], -v[74:75]
	v_add_f64 v[80:81], v[84:85], v[80:81]
	v_add_f64 v[84:85], v[90:91], v[94:95]
	v_mul_f64 v[90:91], v[60:61], s[14:15]
	v_fma_f64 v[92:93], v[62:63], s[26:27], v[88:89]
	v_fma_f64 v[88:89], v[62:63], s[26:27], -v[88:89]
	v_add_f64 v[52:53], v[52:53], -v[56:57]
	v_mul_f64 v[56:57], v[60:61], s[22:23]
	v_mul_f64 v[60:61], v[60:61], s[24:25]
	v_add_f64 v[66:67], v[68:69], v[66:67]
	v_add_f64 v[68:69], v[70:71], v[76:77]
	;; [unrolled: 1-line block ×5, first 2 shown]
	v_fma_f64 v[78:79], v[62:63], s[6:7], -v[90:91]
	v_mul_f64 v[58:59], v[52:53], s[24:25]
	v_fma_f64 v[82:83], v[62:63], s[4:5], v[56:57]
	v_fma_f64 v[88:89], v[62:63], s[20:21], v[60:61]
	;; [unrolled: 1-line block ×3, first 2 shown]
	v_fma_f64 v[56:57], v[62:63], s[4:5], -v[56:57]
	v_fma_f64 v[60:61], v[62:63], s[20:21], -v[60:61]
	v_add_f64 v[44:45], v[44:45], -v[48:49]
	v_add_f64 v[64:65], v[78:79], v[64:65]
	v_fma_f64 v[62:63], v[54:55], s[20:21], v[58:59]
	v_add_f64 v[78:79], v[82:83], v[86:87]
	v_add_f64 v[82:83], v[88:89], v[84:85]
	v_mul_f64 v[84:85], v[52:53], s[22:23]
	v_add_f64 v[72:73], v[74:75], v[72:73]
	v_mul_f64 v[74:75], v[52:53], s[28:29]
	v_fma_f64 v[58:59], v[54:55], s[20:21], -v[58:59]
	v_add_f64 v[60:61], v[60:61], v[66:67]
	v_add_f64 v[62:63], v[62:63], v[68:69]
	v_mul_f64 v[66:67], v[52:53], s[30:31]
	v_mul_f64 v[52:53], v[52:53], s[14:15]
	v_fma_f64 v[68:69], v[54:55], s[4:5], v[84:85]
	v_add_f64 v[12:13], v[126:127], v[12:13]
	v_add_f64 v[56:57], v[56:57], v[80:81]
	v_fma_f64 v[80:81], v[54:55], s[8:9], v[74:75]
	v_add_f64 v[58:59], v[58:59], v[70:71]
	v_fma_f64 v[48:49], v[54:55], s[8:9], -v[74:75]
	v_fma_f64 v[70:71], v[54:55], s[4:5], -v[84:85]
	v_fma_f64 v[74:75], v[54:55], s[26:27], v[66:67]
	v_add_f64 v[46:47], v[50:51], v[46:47]
	v_mul_f64 v[50:51], v[44:45], s[30:31]
	v_fma_f64 v[66:67], v[54:55], s[26:27], -v[66:67]
	v_add_f64 v[68:69], v[68:69], v[72:73]
	v_fma_f64 v[72:73], v[54:55], s[6:7], v[52:53]
	v_fma_f64 v[52:53], v[54:55], s[6:7], -v[52:53]
	v_add_f64 v[12:13], v[92:93], v[12:13]
	v_add_f64 v[64:65], v[70:71], v[64:65]
	;; [unrolled: 1-line block ×3, first 2 shown]
	v_fma_f64 v[70:71], v[46:47], s[26:27], v[50:51]
	v_add_f64 v[56:57], v[66:67], v[56:57]
	v_fma_f64 v[50:51], v[46:47], s[26:27], -v[50:51]
	v_mul_f64 v[66:67], v[44:45], s[16:17]
	v_mul_f64 v[74:75], v[44:45], s[24:25]
	v_add_f64 v[52:53], v[52:53], v[60:61]
	v_mul_f64 v[60:61], v[44:45], s[14:15]
	v_mul_f64 v[44:45], v[44:45], s[18:19]
	v_add_f64 v[12:13], v[80:81], v[12:13]
	v_add_f64 v[48:49], v[48:49], v[76:77]
	;; [unrolled: 1-line block ×5, first 2 shown]
	v_fma_f64 v[50:51], v[46:47], s[4:5], v[66:67]
	v_fma_f64 v[58:59], v[46:47], s[4:5], -v[66:67]
	v_fma_f64 v[62:63], v[46:47], s[20:21], v[74:75]
	v_fma_f64 v[66:67], v[46:47], s[20:21], -v[74:75]
	;; [unrolled: 2-line block ×4, first 2 shown]
	s_movk_i32 s4, 0xffb0
	v_mad_i32_i24 v92, v136, s4, v101
	v_add_u32_e32 v95, 0x400, v92
	v_add_u32_e32 v97, 0x1000, v92
	;; [unrolled: 1-line block ×5, first 2 shown]
	v_add_f64 v[130:131], v[50:51], v[12:13]
	v_add_f64 v[142:143], v[58:59], v[48:49]
	;; [unrolled: 1-line block ×8, first 2 shown]
	s_waitcnt lgkmcnt(0)
	; wave barrier
	s_waitcnt lgkmcnt(0)
	ds_read2_b64 v[52:55], v92 offset1:55
	ds_read2_b64 v[44:47], v95 offset0:92 offset1:147
	ds_read2_b64 v[88:91], v97 offset0:38 offset1:93
	;; [unrolled: 1-line block ×10, first 2 shown]
	v_add_u32_e32 v100, 0x1c00, v92
	ds_read2_b64 v[60:63], v100 offset0:94 offset1:149
	ds_read_b64 v[12:13], v92 offset:10560
	v_add_u32_e32 v93, 0x6e, v136
	s_waitcnt lgkmcnt(0)
	; wave barrier
	s_waitcnt lgkmcnt(0)
	ds_write2_b64 v101, v[110:111], v[102:103] offset1:1
	ds_write2_b64 v101, v[120:121], v[112:113] offset0:2 offset1:3
	ds_write2_b64 v101, v[114:115], v[116:117] offset0:4 offset1:5
	;; [unrolled: 1-line block ×4, first 2 shown]
	ds_write_b64 v101, v[104:105] offset:80
	ds_write2_b64 v137, v[124:125], v[126:127] offset1:1
	ds_write2_b64 v138, v[130:131], v[144:145] offset1:1
	;; [unrolled: 1-line block ×5, first 2 shown]
	ds_write_b64 v101, v[128:129] offset:4920
	s_and_saveexec_b64 s[4:5], vcc
	s_cbranch_execz .LBB0_19
; %bb.18:
	v_add_f64 v[101:102], v[42:43], v[14:15]
	v_add_f64 v[36:37], v[40:41], -v[36:37]
	v_add_f64 v[28:29], v[28:29], -v[32:33]
	s_mov_b32 s26, 0xf8bb580b
	s_mov_b32 s18, 0x43842ef
	;; [unrolled: 1-line block ×5, first 2 shown]
	v_add_f64 v[40:41], v[30:31], v[101:102]
	s_mov_b32 s16, 0x8eee2c13
	s_mov_b32 s19, 0xbfefac9e
	;; [unrolled: 1-line block ×3, first 2 shown]
	v_add_f64 v[42:43], v[38:39], v[42:43]
	v_mul_f64 v[101:102], v[36:37], s[16:17]
	v_mul_f64 v[103:104], v[36:37], s[18:19]
	v_mul_f64 v[105:106], v[36:37], s[22:23]
	v_add_f64 v[40:41], v[22:23], v[40:41]
	s_mov_b32 s6, 0x8764f0ba
	s_mov_b32 s8, 0xd9c712b6
	;; [unrolled: 1-line block ×7, first 2 shown]
	v_add_f64 v[40:41], v[10:11], v[40:41]
	s_mov_b32 s29, 0xbfd207e7
	s_mov_b32 s37, 0x3fd207e7
	;; [unrolled: 1-line block ×5, first 2 shown]
	v_add_f64 v[30:31], v[34:35], v[30:31]
	v_mul_f64 v[107:108], v[28:29], s[16:17]
	v_add_f64 v[32:33], v[2:3], v[40:41]
	v_mul_f64 v[40:41], v[36:37], s[26:27]
	v_mul_f64 v[36:37], v[36:37], s[28:29]
	;; [unrolled: 1-line block ×5, first 2 shown]
	v_fma_f64 v[117:118], v[42:43], s[8:9], v[101:102]
	v_fma_f64 v[101:102], v[42:43], s[8:9], -v[101:102]
	v_add_f64 v[32:33], v[6:7], v[32:33]
	v_fma_f64 v[115:116], v[42:43], s[6:7], v[40:41]
	v_fma_f64 v[40:41], v[42:43], s[6:7], -v[40:41]
	v_fma_f64 v[119:120], v[42:43], s[14:15], v[103:104]
	v_fma_f64 v[103:104], v[42:43], s[14:15], -v[103:104]
	v_fma_f64 v[121:122], v[42:43], s[20:21], v[105:106]
	v_add_f64 v[20:21], v[20:21], -v[24:25]
	s_mov_b32 s24, 0x9bcd5057
	v_add_f64 v[32:33], v[18:19], v[32:33]
	s_mov_b32 s25, 0xbfeeb42a
	s_mov_b32 s31, 0x3fe14ced
	;; [unrolled: 1-line block ×3, first 2 shown]
	v_fma_f64 v[105:106], v[42:43], s[20:21], -v[105:106]
	v_fma_f64 v[123:124], v[42:43], s[24:25], v[36:37]
	v_fma_f64 v[36:37], v[42:43], s[24:25], -v[36:37]
	v_fma_f64 v[42:43], v[30:31], s[8:9], v[107:108]
	v_add_f64 v[32:33], v[26:27], v[32:33]
	v_fma_f64 v[107:108], v[30:31], s[8:9], -v[107:108]
	v_fma_f64 v[125:126], v[30:31], s[20:21], v[109:110]
	v_add_f64 v[115:116], v[14:15], v[115:116]
	v_add_f64 v[40:41], v[14:15], v[40:41]
	;; [unrolled: 1-line block ×4, first 2 shown]
	v_mul_f64 v[24:25], v[28:29], s[30:31]
	v_add_f64 v[32:33], v[34:35], v[32:33]
	v_add_f64 v[34:35], v[14:15], v[121:122]
	v_fma_f64 v[28:29], v[30:31], s[24:25], -v[111:112]
	v_add_f64 v[22:23], v[26:27], v[22:23]
	v_mul_f64 v[26:27], v[20:21], s[18:19]
	s_mov_b32 s17, 0x3fed1bb4
	v_add_f64 v[117:118], v[14:15], v[117:118]
	v_add_f64 v[119:120], v[14:15], v[119:120]
	v_add_f64 v[32:33], v[38:39], v[32:33]
	v_fma_f64 v[38:39], v[30:31], s[20:21], -v[109:110]
	v_fma_f64 v[109:110], v[30:31], s[14:15], v[113:114]
	v_add_f64 v[105:106], v[14:15], v[105:106]
	v_add_f64 v[121:122], v[14:15], v[123:124]
	;; [unrolled: 1-line block ×5, first 2 shown]
	v_fma_f64 v[107:108], v[30:31], s[24:25], v[111:112]
	v_add_f64 v[38:39], v[38:39], v[101:102]
	v_fma_f64 v[101:102], v[30:31], s[14:15], -v[113:114]
	v_fma_f64 v[111:112], v[30:31], s[6:7], v[24:25]
	v_add_f64 v[28:29], v[28:29], v[103:104]
	v_add_f64 v[34:35], v[109:110], v[34:35]
	v_mul_f64 v[103:104], v[20:21], s[36:37]
	v_fma_f64 v[24:25], v[30:31], s[6:7], -v[24:25]
	v_fma_f64 v[30:31], v[22:23], s[14:15], v[26:27]
	v_fma_f64 v[26:27], v[22:23], s[14:15], -v[26:27]
	v_mul_f64 v[109:110], v[20:21], s[16:17]
	v_add_f64 v[8:9], v[8:9], -v[16:17]
	v_add_f64 v[42:43], v[125:126], v[117:118]
	v_add_f64 v[107:108], v[107:108], v[119:120]
	;; [unrolled: 1-line block ×4, first 2 shown]
	v_fma_f64 v[111:112], v[22:23], s[24:25], v[103:104]
	v_fma_f64 v[103:104], v[22:23], s[24:25], -v[103:104]
	v_add_f64 v[14:15], v[24:25], v[14:15]
	v_add_f64 v[24:25], v[30:31], v[36:37]
	;; [unrolled: 1-line block ×3, first 2 shown]
	v_mul_f64 v[16:17], v[20:21], s[26:27]
	v_fma_f64 v[30:31], v[22:23], s[8:9], v[109:110]
	v_mul_f64 v[20:21], v[20:21], s[22:23]
	v_fma_f64 v[40:41], v[22:23], s[8:9], -v[109:110]
	v_add_f64 v[10:11], v[18:19], v[10:11]
	v_mul_f64 v[18:19], v[8:9], s[22:23]
	v_add_f64 v[36:37], v[111:112], v[42:43]
	v_add_f64 v[38:39], v[103:104], v[38:39]
	v_fma_f64 v[42:43], v[22:23], s[6:7], v[16:17]
	v_add_f64 v[30:31], v[30:31], v[107:108]
	v_fma_f64 v[16:17], v[22:23], s[6:7], -v[16:17]
	v_mul_f64 v[103:104], v[8:9], s[34:35]
	v_fma_f64 v[107:108], v[22:23], s[20:21], v[20:21]
	v_fma_f64 v[20:21], v[22:23], s[20:21], -v[20:21]
	v_add_f64 v[22:23], v[40:41], v[28:29]
	v_fma_f64 v[28:29], v[10:11], s[20:21], v[18:19]
	v_fma_f64 v[18:19], v[10:11], s[20:21], -v[18:19]
	v_add_f64 v[0:1], v[0:1], -v[4:5]
	v_add_f64 v[16:17], v[16:17], v[101:102]
	v_fma_f64 v[40:41], v[10:11], s[14:15], v[103:104]
	v_add_f64 v[2:3], v[6:7], v[2:3]
	v_add_f64 v[14:15], v[20:21], v[14:15]
	v_mul_f64 v[20:21], v[8:9], s[26:27]
	v_add_f64 v[24:25], v[28:29], v[24:25]
	v_mul_f64 v[28:29], v[8:9], s[28:29]
	v_add_f64 v[18:19], v[18:19], v[26:27]
	v_fma_f64 v[26:27], v[10:11], s[14:15], -v[103:104]
	v_mul_f64 v[8:9], v[8:9], s[16:17]
	v_add_f64 v[4:5], v[40:41], v[36:37]
	v_mul_f64 v[6:7], v[0:1], s[28:29]
	v_fma_f64 v[36:37], v[10:11], s[6:7], v[20:21]
	v_fma_f64 v[20:21], v[10:11], s[6:7], -v[20:21]
	v_fma_f64 v[40:41], v[10:11], s[24:25], v[28:29]
	v_fma_f64 v[28:29], v[10:11], s[24:25], -v[28:29]
	v_add_f64 v[34:35], v[42:43], v[34:35]
	v_add_f64 v[42:43], v[107:108], v[105:106]
	;; [unrolled: 1-line block ×3, first 2 shown]
	v_fma_f64 v[38:39], v[10:11], s[8:9], v[8:9]
	v_add_f64 v[30:31], v[36:37], v[30:31]
	v_add_f64 v[20:21], v[20:21], v[22:23]
	v_fma_f64 v[8:9], v[10:11], s[8:9], -v[8:9]
	v_fma_f64 v[22:23], v[2:3], s[24:25], v[6:7]
	v_add_f64 v[16:17], v[28:29], v[16:17]
	v_mul_f64 v[28:29], v[0:1], s[30:31]
	v_mul_f64 v[36:37], v[0:1], s[22:23]
	v_add_f64 v[10:11], v[40:41], v[34:35]
	v_add_f64 v[34:35], v[38:39], v[42:43]
	v_mul_f64 v[38:39], v[0:1], s[16:17]
	v_mul_f64 v[0:1], v[0:1], s[18:19]
	v_add_f64 v[8:9], v[8:9], v[14:15]
	v_add_f64 v[14:15], v[22:23], v[24:25]
	v_fma_f64 v[22:23], v[2:3], s[6:7], v[28:29]
	v_fma_f64 v[24:25], v[2:3], s[6:7], -v[28:29]
	v_fma_f64 v[28:29], v[2:3], s[20:21], v[36:37]
	v_fma_f64 v[6:7], v[2:3], s[24:25], -v[6:7]
	v_fma_f64 v[40:41], v[2:3], s[8:9], v[38:39]
	v_fma_f64 v[42:43], v[2:3], s[14:15], v[0:1]
	v_fma_f64 v[38:39], v[2:3], s[8:9], -v[38:39]
	v_fma_f64 v[0:1], v[2:3], s[14:15], -v[0:1]
	;; [unrolled: 1-line block ×3, first 2 shown]
	v_add_f64 v[4:5], v[22:23], v[4:5]
	v_add_f64 v[22:23], v[24:25], v[26:27]
	;; [unrolled: 1-line block ×9, first 2 shown]
	s_movk_i32 s6, 0x58
	v_mad_u32_u24 v8, v93, s6, 0
	ds_write2_b64 v8, v[32:33], v[14:15] offset1:1
	ds_write2_b64 v8, v[4:5], v[24:25] offset0:2 offset1:3
	ds_write2_b64 v8, v[10:11], v[26:27] offset0:4 offset1:5
	;; [unrolled: 1-line block ×4, first 2 shown]
	ds_write_b64 v8, v[6:7] offset:80
.LBB0_19:
	s_or_b64 exec, exec, s[4:5]
	s_movk_i32 s4, 0x75
	v_mul_lo_u16_sdwa v0, v136, s4 dst_sel:DWORD dst_unused:UNUSED_PAD src0_sel:BYTE_0 src1_sel:DWORD
	v_sub_u16_sdwa v1, v136, v0 dst_sel:DWORD dst_unused:UNUSED_PAD src0_sel:DWORD src1_sel:BYTE_1
	v_lshrrev_b16_e32 v1, 1, v1
	v_and_b32_e32 v1, 0x7f, v1
	v_add_u16_sdwa v0, v1, v0 dst_sel:DWORD dst_unused:UNUSED_PAD src0_sel:DWORD src1_sel:BYTE_1
	v_lshrrev_b16_e32 v8, 3, v0
	v_mul_lo_u16_e32 v0, 11, v8
	v_sub_u16_e32 v9, v136, v0
	v_mov_b32_e32 v0, 6
	v_add_u32_e32 v94, 55, v136
	v_lshlrev_b32_sdwa v1, v0, v9 dst_sel:DWORD dst_unused:UNUSED_PAD src0_sel:DWORD src1_sel:BYTE_0
	s_waitcnt lgkmcnt(0)
	; wave barrier
	s_waitcnt lgkmcnt(0)
	global_load_dwordx4 v[20:23], v1, s[12:13] offset:48
	global_load_dwordx4 v[24:27], v1, s[12:13] offset:32
	;; [unrolled: 1-line block ×3, first 2 shown]
	global_load_dwordx4 v[32:35], v1, s[12:13]
	v_mul_lo_u16_sdwa v1, v94, s4 dst_sel:DWORD dst_unused:UNUSED_PAD src0_sel:BYTE_0 src1_sel:DWORD
	v_sub_u16_sdwa v2, v94, v1 dst_sel:DWORD dst_unused:UNUSED_PAD src0_sel:DWORD src1_sel:BYTE_1
	v_lshrrev_b16_e32 v2, 1, v2
	v_and_b32_e32 v2, 0x7f, v2
	v_add_u16_sdwa v1, v2, v1 dst_sel:DWORD dst_unused:UNUSED_PAD src0_sel:DWORD src1_sel:BYTE_1
	v_lshrrev_b16_e32 v10, 3, v1
	v_mul_lo_u16_e32 v1, 11, v10
	v_sub_u16_e32 v11, v94, v1
	v_lshlrev_b32_sdwa v1, v0, v11 dst_sel:DWORD dst_unused:UNUSED_PAD src0_sel:DWORD src1_sel:BYTE_0
	global_load_dwordx4 v[36:39], v1, s[12:13]
	global_load_dwordx4 v[101:104], v1, s[12:13] offset:16
	global_load_dwordx4 v[105:108], v1, s[12:13] offset:48
	;; [unrolled: 1-line block ×3, first 2 shown]
	v_mul_lo_u16_sdwa v1, v93, s4 dst_sel:DWORD dst_unused:UNUSED_PAD src0_sel:BYTE_0 src1_sel:DWORD
	v_sub_u16_sdwa v2, v93, v1 dst_sel:DWORD dst_unused:UNUSED_PAD src0_sel:DWORD src1_sel:BYTE_1
	v_lshrrev_b16_e32 v2, 1, v2
	v_and_b32_e32 v2, 0x7f, v2
	v_add_u16_sdwa v1, v2, v1 dst_sel:DWORD dst_unused:UNUSED_PAD src0_sel:DWORD src1_sel:BYTE_1
	v_lshrrev_b16_e32 v14, 3, v1
	v_mul_lo_u16_e32 v1, 11, v14
	v_sub_u16_e32 v15, v93, v1
	v_lshlrev_b32_sdwa v1, v0, v15 dst_sel:DWORD dst_unused:UNUSED_PAD src0_sel:DWORD src1_sel:BYTE_0
	global_load_dwordx4 v[113:116], v1, s[12:13]
	global_load_dwordx4 v[117:120], v1, s[12:13] offset:16
	global_load_dwordx4 v[121:124], v1, s[12:13] offset:48
	;; [unrolled: 1-line block ×3, first 2 shown]
	v_add_u32_e32 v42, 0xa5, v136
	v_mul_lo_u16_sdwa v1, v42, s4 dst_sel:DWORD dst_unused:UNUSED_PAD src0_sel:BYTE_0 src1_sel:DWORD
	v_sub_u16_sdwa v2, v42, v1 dst_sel:DWORD dst_unused:UNUSED_PAD src0_sel:DWORD src1_sel:BYTE_1
	v_lshrrev_b16_e32 v2, 1, v2
	v_and_b32_e32 v2, 0x7f, v2
	v_add_u16_sdwa v1, v2, v1 dst_sel:DWORD dst_unused:UNUSED_PAD src0_sel:DWORD src1_sel:BYTE_1
	v_lshrrev_b16_e32 v16, 3, v1
	v_mul_lo_u16_e32 v1, 11, v16
	v_sub_u16_e32 v17, v42, v1
	v_lshlrev_b32_sdwa v0, v0, v17 dst_sel:DWORD dst_unused:UNUSED_PAD src0_sel:DWORD src1_sel:BYTE_0
	global_load_dwordx4 v[137:140], v0, s[12:13]
	global_load_dwordx4 v[141:144], v0, s[12:13] offset:16
	global_load_dwordx4 v[145:148], v0, s[12:13] offset:32
	;; [unrolled: 1-line block ×3, first 2 shown]
	v_add_u32_e32 v43, 0xdc, v136
	s_mov_b32 s4, 0xba2f
	v_mul_u32_u24_sdwa v0, v43, s4 dst_sel:DWORD dst_unused:UNUSED_PAD src0_sel:WORD_0 src1_sel:DWORD
	v_lshrrev_b32_e32 v18, 19, v0
	v_mul_lo_u16_e32 v0, 11, v18
	v_sub_u16_e32 v19, v43, v0
	v_lshlrev_b32_e32 v4, 6, v19
	global_load_dwordx4 v[153:156], v4, s[12:13]
	global_load_dwordx4 v[157:160], v4, s[12:13] offset:16
	ds_read2_b64 v[161:164], v92 offset1:55
	ds_read2_b64 v[0:3], v95 offset0:92 offset1:147
	ds_read2_b64 v[165:168], v97 offset0:38 offset1:93
	;; [unrolled: 1-line block ×4, first 2 shown]
	global_load_dwordx4 v[177:180], v4, s[12:13] offset:48
	global_load_dwordx4 v[181:184], v4, s[12:13] offset:32
	ds_read2_b64 v[185:188], v96 offset0:74 offset1:129
	ds_read2_b64 v[189:192], v99 offset0:112 offset1:167
	;; [unrolled: 1-line block ×7, first 2 shown]
	ds_read_b64 v[40:41], v92 offset:10560
	s_mov_b32 s4, 0x134454ff
	s_mov_b32 s5, 0x3fee6f0e
	;; [unrolled: 1-line block ×10, first 2 shown]
	s_waitcnt lgkmcnt(0)
	; wave barrier
	s_waitcnt lgkmcnt(0)
	s_movk_i32 s18, 0x95
	s_waitcnt vmcnt(19)
	v_mul_f64 v[213:214], v[173:174], v[22:23]
	s_waitcnt vmcnt(18)
	v_mul_f64 v[211:212], v[171:172], v[26:27]
	;; [unrolled: 2-line block ×4, first 2 shown]
	v_mul_f64 v[34:35], v[46:47], v[34:35]
	v_mul_f64 v[30:31], v[88:89], v[30:31]
	;; [unrolled: 1-line block ×4, first 2 shown]
	s_waitcnt vmcnt(15)
	v_mul_f64 v[215:216], v[185:186], v[38:39]
	v_fma_f64 v[46:47], v[46:47], v[32:33], -v[129:130]
	v_fma_f64 v[2:3], v[2:3], v[32:33], v[34:35]
	v_fma_f64 v[32:33], v[88:89], v[28:29], -v[209:210]
	v_fma_f64 v[28:29], v[165:166], v[28:29], v[30:31]
	;; [unrolled: 2-line block ×4, first 2 shown]
	v_mul_f64 v[22:23], v[80:81], v[38:39]
	s_waitcnt vmcnt(14)
	v_mul_f64 v[34:35], v[167:168], v[103:104]
	v_mul_f64 v[38:39], v[90:91], v[103:104]
	s_waitcnt vmcnt(12)
	v_mul_f64 v[58:59], v[189:190], v[111:112]
	v_mul_f64 v[84:85], v[76:77], v[111:112]
	;; [unrolled: 1-line block ×4, first 2 shown]
	v_fma_f64 v[80:81], v[80:81], v[36:37], -v[215:216]
	v_fma_f64 v[22:23], v[185:186], v[36:37], v[22:23]
	v_fma_f64 v[34:35], v[90:91], v[101:102], -v[34:35]
	v_fma_f64 v[36:37], v[167:168], v[101:102], v[38:39]
	;; [unrolled: 2-line block ×4, first 2 shown]
	s_waitcnt vmcnt(8)
	v_mul_f64 v[103:104], v[191:192], v[127:128]
	v_mul_f64 v[76:77], v[187:188], v[115:116]
	;; [unrolled: 1-line block ×7, first 2 shown]
	s_waitcnt vmcnt(5)
	v_mul_f64 v[111:112], v[205:206], v[147:148]
	v_fma_f64 v[78:79], v[78:79], v[125:126], -v[103:104]
	v_mul_f64 v[103:104], v[201:202], v[139:140]
	v_fma_f64 v[76:77], v[82:83], v[113:114], -v[76:77]
	;; [unrolled: 2-line block ×3, first 2 shown]
	v_fma_f64 v[90:91], v[193:194], v[117:118], v[101:102]
	v_fma_f64 v[101:102], v[191:192], v[125:126], v[105:106]
	v_mul_f64 v[105:106], v[64:65], v[139:140]
	s_waitcnt vmcnt(4)
	v_mul_f64 v[115:116], v[70:71], v[151:152]
	v_fma_f64 v[64:65], v[64:65], v[137:138], -v[103:104]
	v_mul_f64 v[103:104], v[199:200], v[151:152]
	v_fma_f64 v[88:89], v[187:188], v[113:114], v[88:89]
	v_fma_f64 v[68:69], v[68:69], v[121:122], -v[82:83]
	v_fma_f64 v[82:83], v[197:198], v[121:122], v[107:108]
	v_mul_f64 v[107:108], v[195:196], v[143:144]
	v_mul_f64 v[109:110], v[74:75], v[143:144]
	;; [unrolled: 1-line block ×3, first 2 shown]
	v_fma_f64 v[60:61], v[60:61], v[145:146], -v[111:112]
	s_waitcnt vmcnt(3)
	v_mul_f64 v[111:112], v[203:204], v[155:156]
	v_fma_f64 v[70:71], v[70:71], v[149:150], -v[103:104]
	v_fma_f64 v[103:104], v[199:200], v[149:150], v[115:116]
	s_waitcnt vmcnt(2)
	v_mul_f64 v[115:116], v[169:170], v[159:160]
	v_add_f64 v[117:118], v[52:53], v[46:47]
	v_mul_f64 v[119:120], v[56:57], v[159:160]
	v_add_f64 v[121:122], v[32:33], v[30:31]
	v_fma_f64 v[105:106], v[201:202], v[137:138], v[105:106]
	v_fma_f64 v[74:75], v[74:75], v[141:142], -v[107:108]
	v_fma_f64 v[107:108], v[195:196], v[141:142], v[109:110]
	v_fma_f64 v[109:110], v[205:206], v[145:146], v[113:114]
	v_mul_f64 v[113:114], v[66:67], v[155:156]
	v_fma_f64 v[66:67], v[66:67], v[153:154], -v[111:112]
	s_waitcnt vmcnt(0)
	v_mul_f64 v[111:112], v[207:208], v[183:184]
	v_mul_f64 v[123:124], v[62:63], v[183:184]
	v_fma_f64 v[56:57], v[56:57], v[157:158], -v[115:116]
	v_add_f64 v[115:116], v[117:118], v[32:33]
	v_fma_f64 v[117:118], v[169:170], v[157:158], v[119:120]
	v_fma_f64 v[119:120], v[121:122], -0.5, v[52:53]
	v_add_f64 v[121:122], v[2:3], -v[20:21]
	v_add_f64 v[137:138], v[46:47], v[26:27]
	v_fma_f64 v[62:63], v[62:63], v[181:182], -v[111:112]
	v_fma_f64 v[111:112], v[207:208], v[181:182], v[123:124]
	v_mul_f64 v[123:124], v[40:41], v[179:180]
	v_add_f64 v[129:130], v[28:29], -v[24:25]
	v_mul_f64 v[125:126], v[12:13], v[179:180]
	v_add_f64 v[115:116], v[115:116], v[30:31]
	v_fma_f64 v[127:128], v[121:122], s[4:5], v[119:120]
	v_fma_f64 v[52:53], v[137:138], -0.5, v[52:53]
	v_add_f64 v[139:140], v[46:47], -v[32:33]
	v_add_f64 v[141:142], v[26:27], -v[30:31]
	v_fma_f64 v[12:13], v[12:13], v[177:178], -v[123:124]
	v_fma_f64 v[119:120], v[121:122], s[8:9], v[119:120]
	v_fma_f64 v[40:41], v[40:41], v[177:178], v[125:126]
	v_add_f64 v[115:116], v[115:116], v[26:27]
	v_fma_f64 v[123:124], v[129:130], s[6:7], v[127:128]
	v_add_f64 v[127:128], v[28:29], v[24:25]
	;; [unrolled: 2-line block ×3, first 2 shown]
	v_add_f64 v[139:140], v[32:33], -v[46:47]
	v_add_f64 v[141:142], v[30:31], -v[26:27]
	v_fma_f64 v[52:53], v[129:130], s[4:5], v[52:53]
	v_add_f64 v[143:144], v[161:162], v[2:3]
	v_add_f64 v[26:27], v[46:47], -v[26:27]
	v_fma_f64 v[127:128], v[127:128], -0.5, v[161:162]
	v_fma_f64 v[46:47], v[129:130], s[14:15], v[119:120]
	v_fma_f64 v[119:120], v[121:122], s[6:7], v[137:138]
	v_add_f64 v[137:138], v[2:3], v[20:21]
	v_add_f64 v[129:130], v[139:140], v[141:142]
	v_fma_f64 v[52:53], v[121:122], s[14:15], v[52:53]
	v_add_f64 v[121:122], v[143:144], v[28:29]
	v_add_f64 v[30:31], v[32:33], -v[30:31]
	v_fma_f64 v[139:140], v[26:27], s[8:9], v[127:128]
	v_fma_f64 v[32:33], v[125:126], s[16:17], v[123:124]
	;; [unrolled: 1-line block ×3, first 2 shown]
	v_fma_f64 v[123:124], v[137:138], -0.5, v[161:162]
	v_add_f64 v[137:138], v[34:35], v[38:39]
	v_fma_f64 v[119:120], v[129:130], s[16:17], v[119:120]
	v_fma_f64 v[52:53], v[129:130], s[16:17], v[52:53]
	v_add_f64 v[121:122], v[121:122], v[24:25]
	v_fma_f64 v[125:126], v[30:31], s[14:15], v[139:140]
	v_add_f64 v[129:130], v[2:3], -v[28:29]
	v_add_f64 v[139:140], v[20:21], -v[24:25]
	v_fma_f64 v[127:128], v[26:27], s[4:5], v[127:128]
	v_fma_f64 v[141:142], v[30:31], s[4:5], v[123:124]
	v_add_f64 v[2:3], v[28:29], -v[2:3]
	v_add_f64 v[24:25], v[24:25], -v[20:21]
	v_fma_f64 v[28:29], v[30:31], s[8:9], v[123:124]
	v_add_f64 v[123:124], v[54:55], v[80:81]
	v_fma_f64 v[137:138], v[137:138], -0.5, v[54:55]
	v_add_f64 v[143:144], v[22:23], -v[86:87]
	v_add_f64 v[129:130], v[129:130], v[139:140]
	v_fma_f64 v[30:31], v[30:31], s[6:7], v[127:128]
	v_fma_f64 v[127:128], v[26:27], s[14:15], v[141:142]
	v_add_f64 v[2:3], v[2:3], v[24:25]
	v_fma_f64 v[24:25], v[26:27], s[6:7], v[28:29]
	v_add_f64 v[26:27], v[80:81], v[84:85]
	v_add_f64 v[28:29], v[123:124], v[34:35]
	v_fma_f64 v[123:124], v[143:144], s[4:5], v[137:138]
	v_add_f64 v[139:140], v[36:37], -v[58:59]
	v_add_f64 v[20:21], v[121:122], v[20:21]
	v_fma_f64 v[121:122], v[129:130], s[16:17], v[125:126]
	v_fma_f64 v[125:126], v[129:130], s[16:17], v[30:31]
	;; [unrolled: 1-line block ×3, first 2 shown]
	v_fma_f64 v[26:27], v[26:27], -0.5, v[54:55]
	v_fma_f64 v[129:130], v[2:3], s[16:17], v[24:25]
	v_add_f64 v[2:3], v[28:29], v[38:39]
	v_fma_f64 v[24:25], v[139:140], s[6:7], v[123:124]
	v_add_f64 v[28:29], v[80:81], -v[34:35]
	v_add_f64 v[30:31], v[36:37], v[58:59]
	v_add_f64 v[54:55], v[84:85], -v[38:39]
	v_fma_f64 v[123:124], v[143:144], s[8:9], v[137:138]
	v_fma_f64 v[137:138], v[139:140], s[8:9], v[26:27]
	v_add_f64 v[141:142], v[34:35], -v[80:81]
	v_add_f64 v[145:146], v[38:39], -v[84:85]
	v_fma_f64 v[26:27], v[139:140], s[4:5], v[26:27]
	v_add_f64 v[147:148], v[163:164], v[22:23]
	v_fma_f64 v[30:31], v[30:31], -0.5, v[163:164]
	v_add_f64 v[80:81], v[80:81], -v[84:85]
	v_add_f64 v[28:29], v[28:29], v[54:55]
	v_fma_f64 v[54:55], v[139:140], s[14:15], v[123:124]
	v_add_f64 v[139:140], v[22:23], v[86:87]
	v_fma_f64 v[123:124], v[143:144], s[6:7], v[137:138]
	;; [unrolled: 2-line block ×4, first 2 shown]
	v_add_f64 v[34:35], v[34:35], -v[38:39]
	v_fma_f64 v[24:25], v[28:29], s[16:17], v[24:25]
	v_fma_f64 v[28:29], v[28:29], s[16:17], v[54:55]
	v_fma_f64 v[54:55], v[139:140], -0.5, v[163:164]
	v_add_f64 v[2:3], v[2:3], v[84:85]
	v_fma_f64 v[38:39], v[137:138], s[16:17], v[123:124]
	v_fma_f64 v[26:27], v[137:138], s[16:17], v[26:27]
	v_add_f64 v[84:85], v[141:142], v[58:59]
	v_fma_f64 v[123:124], v[34:35], s[14:15], v[143:144]
	v_add_f64 v[137:138], v[22:23], -v[36:37]
	v_add_f64 v[139:140], v[72:73], v[78:79]
	v_add_f64 v[141:142], v[86:87], -v[58:59]
	v_fma_f64 v[30:31], v[80:81], s[4:5], v[30:31]
	v_fma_f64 v[143:144], v[34:35], s[4:5], v[54:55]
	v_add_f64 v[22:23], v[36:37], -v[22:23]
	v_add_f64 v[36:37], v[58:59], -v[86:87]
	v_fma_f64 v[54:55], v[34:35], s[8:9], v[54:55]
	v_add_f64 v[58:59], v[48:49], v[76:77]
	v_fma_f64 v[139:140], v[139:140], -0.5, v[48:49]
	v_add_f64 v[145:146], v[88:89], -v[82:83]
	v_add_f64 v[137:138], v[137:138], v[141:142]
	v_fma_f64 v[30:31], v[34:35], s[6:7], v[30:31]
	v_fma_f64 v[34:35], v[80:81], s[14:15], v[143:144]
	v_add_f64 v[22:23], v[22:23], v[36:37]
	v_fma_f64 v[36:37], v[80:81], s[6:7], v[54:55]
	v_add_f64 v[54:55], v[58:59], v[72:73]
	v_add_f64 v[58:59], v[76:77], v[68:69]
	v_fma_f64 v[80:81], v[145:146], s[4:5], v[139:140]
	v_add_f64 v[141:142], v[90:91], -v[101:102]
	v_add_f64 v[84:85], v[84:85], v[86:87]
	v_fma_f64 v[86:87], v[137:138], s[16:17], v[123:124]
	v_fma_f64 v[123:124], v[137:138], s[16:17], v[30:31]
	;; [unrolled: 1-line block ×4, first 2 shown]
	v_fma_f64 v[22:23], v[58:59], -0.5, v[48:49]
	v_add_f64 v[30:31], v[54:55], v[78:79]
	v_fma_f64 v[34:35], v[141:142], s[6:7], v[80:81]
	v_add_f64 v[36:37], v[76:77], -v[72:73]
	v_add_f64 v[48:49], v[4:5], v[88:89]
	v_add_f64 v[54:55], v[90:91], v[101:102]
	v_add_f64 v[58:59], v[68:69], -v[78:79]
	v_fma_f64 v[80:81], v[145:146], s[8:9], v[139:140]
	v_fma_f64 v[139:140], v[141:142], s[8:9], v[22:23]
	v_add_f64 v[147:148], v[72:73], -v[76:77]
	v_add_f64 v[149:150], v[78:79], -v[68:69]
	v_fma_f64 v[22:23], v[141:142], s[4:5], v[22:23]
	v_add_f64 v[48:49], v[48:49], v[90:91]
	v_fma_f64 v[54:55], v[54:55], -0.5, v[4:5]
	v_add_f64 v[76:77], v[76:77], -v[68:69]
	v_add_f64 v[36:37], v[36:37], v[58:59]
	v_fma_f64 v[58:59], v[141:142], s[14:15], v[80:81]
	v_fma_f64 v[80:81], v[145:146], s[6:7], v[139:140]
	v_add_f64 v[139:140], v[147:148], v[149:150]
	v_fma_f64 v[22:23], v[145:146], s[14:15], v[22:23]
	v_add_f64 v[141:142], v[88:89], v[82:83]
	v_add_f64 v[48:49], v[48:49], v[101:102]
	v_fma_f64 v[145:146], v[76:77], s[8:9], v[54:55]
	v_add_f64 v[72:73], v[72:73], -v[78:79]
	v_fma_f64 v[34:35], v[36:37], s[16:17], v[34:35]
	v_fma_f64 v[36:37], v[36:37], s[16:17], v[58:59]
	;; [unrolled: 1-line block ×4, first 2 shown]
	v_fma_f64 v[4:5], v[141:142], -0.5, v[4:5]
	v_add_f64 v[78:79], v[88:89], -v[90:91]
	v_add_f64 v[80:81], v[82:83], -v[101:102]
	v_add_f64 v[139:140], v[50:51], v[64:65]
	v_add_f64 v[30:31], v[30:31], v[68:69]
	;; [unrolled: 1-line block ×3, first 2 shown]
	v_fma_f64 v[48:49], v[72:73], s[14:15], v[145:146]
	v_fma_f64 v[54:55], v[76:77], s[4:5], v[54:55]
	v_add_f64 v[141:142], v[74:75], v[60:61]
	v_fma_f64 v[145:146], v[72:73], s[4:5], v[4:5]
	v_add_f64 v[88:89], v[90:91], -v[88:89]
	v_add_f64 v[82:83], v[101:102], -v[82:83]
	v_fma_f64 v[4:5], v[72:73], s[8:9], v[4:5]
	v_add_f64 v[78:79], v[78:79], v[80:81]
	v_add_f64 v[80:81], v[139:140], v[74:75]
	v_fma_f64 v[54:55], v[72:73], s[6:7], v[54:55]
	v_fma_f64 v[72:73], v[141:142], -0.5, v[50:51]
	v_add_f64 v[90:91], v[105:106], -v[103:104]
	v_fma_f64 v[101:102], v[76:77], s[14:15], v[145:146]
	v_add_f64 v[82:83], v[88:89], v[82:83]
	v_fma_f64 v[4:5], v[76:77], s[6:7], v[4:5]
	v_add_f64 v[76:77], v[64:65], v[70:71]
	v_add_f64 v[80:81], v[80:81], v[60:61]
	v_fma_f64 v[88:89], v[78:79], s[16:17], v[48:49]
	v_fma_f64 v[78:79], v[78:79], s[16:17], v[54:55]
	;; [unrolled: 1-line block ×3, first 2 shown]
	v_add_f64 v[54:55], v[107:108], -v[109:110]
	v_fma_f64 v[101:102], v[82:83], s[16:17], v[101:102]
	v_fma_f64 v[82:83], v[82:83], s[16:17], v[4:5]
	v_fma_f64 v[4:5], v[76:77], -0.5, v[50:51]
	v_add_f64 v[50:51], v[80:81], v[70:71]
	v_add_f64 v[76:77], v[64:65], -v[74:75]
	v_add_f64 v[80:81], v[70:71], -v[60:61]
	v_fma_f64 v[72:73], v[90:91], s[8:9], v[72:73]
	v_fma_f64 v[48:49], v[54:55], s[6:7], v[48:49]
	v_add_f64 v[139:140], v[6:7], v[105:106]
	v_add_f64 v[141:142], v[107:108], v[109:110]
	v_fma_f64 v[145:146], v[54:55], s[8:9], v[4:5]
	v_add_f64 v[147:148], v[74:75], -v[64:65]
	v_add_f64 v[149:150], v[60:61], -v[70:71]
	v_add_f64 v[76:77], v[76:77], v[80:81]
	v_fma_f64 v[72:73], v[54:55], s[14:15], v[72:73]
	v_fma_f64 v[4:5], v[54:55], s[4:5], v[4:5]
	v_add_f64 v[54:55], v[139:140], v[107:108]
	v_fma_f64 v[80:81], v[141:142], -0.5, v[6:7]
	v_add_f64 v[64:65], v[64:65], -v[70:71]
	v_fma_f64 v[113:114], v[203:204], v[153:154], v[113:114]
	v_fma_f64 v[70:71], v[90:91], s[6:7], v[145:146]
	;; [unrolled: 1-line block ×4, first 2 shown]
	v_add_f64 v[76:77], v[105:106], v[103:104]
	v_add_f64 v[139:140], v[147:148], v[149:150]
	v_fma_f64 v[4:5], v[90:91], s[14:15], v[4:5]
	v_add_f64 v[54:55], v[54:55], v[109:110]
	v_fma_f64 v[90:91], v[64:65], s[8:9], v[80:81]
	v_add_f64 v[60:61], v[74:75], -v[60:61]
	v_add_f64 v[74:75], v[56:57], v[62:63]
	v_add_f64 v[141:142], v[105:106], -v[107:108]
	v_add_f64 v[145:146], v[103:104], -v[109:110]
	v_fma_f64 v[6:7], v[76:77], -0.5, v[6:7]
	v_fma_f64 v[70:71], v[139:140], s[16:17], v[70:71]
	v_fma_f64 v[4:5], v[139:140], s[16:17], v[4:5]
	v_add_f64 v[76:77], v[54:55], v[103:104]
	v_fma_f64 v[54:55], v[60:61], s[14:15], v[90:91]
	v_add_f64 v[90:91], v[44:45], v[66:67]
	v_fma_f64 v[74:75], v[74:75], -0.5, v[44:45]
	v_add_f64 v[139:140], v[113:114], -v[40:41]
	v_add_f64 v[141:142], v[141:142], v[145:146]
	v_fma_f64 v[80:81], v[64:65], s[4:5], v[80:81]
	v_fma_f64 v[145:146], v[60:61], s[4:5], v[6:7]
	v_add_f64 v[105:106], v[107:108], -v[105:106]
	v_add_f64 v[103:104], v[109:110], -v[103:104]
	v_fma_f64 v[6:7], v[60:61], s[8:9], v[6:7]
	v_add_f64 v[90:91], v[90:91], v[56:57]
	v_fma_f64 v[107:108], v[139:140], s[4:5], v[74:75]
	v_add_f64 v[109:110], v[117:118], -v[111:112]
	v_add_f64 v[147:148], v[66:67], -v[56:57]
	;; [unrolled: 1-line block ×3, first 2 shown]
	v_fma_f64 v[60:61], v[60:61], s[6:7], v[80:81]
	v_add_f64 v[80:81], v[66:67], v[12:13]
	v_fma_f64 v[145:146], v[64:65], s[14:15], v[145:146]
	v_add_f64 v[103:104], v[105:106], v[103:104]
	;; [unrolled: 2-line block ×4, first 2 shown]
	v_fma_f64 v[107:108], v[141:142], s[16:17], v[54:55]
	v_fma_f64 v[44:45], v[80:81], -0.5, v[44:45]
	v_fma_f64 v[80:81], v[141:142], s[16:17], v[60:61]
	v_fma_f64 v[141:142], v[103:104], s[16:17], v[145:146]
	v_add_f64 v[54:55], v[117:118], v[111:112]
	v_add_f64 v[145:146], v[113:114], v[40:41]
	v_fma_f64 v[103:104], v[103:104], s[16:17], v[6:7]
	v_add_f64 v[6:7], v[64:65], v[12:13]
	v_fma_f64 v[60:61], v[105:106], s[16:17], v[90:91]
	v_fma_f64 v[64:65], v[139:140], s[8:9], v[74:75]
	;; [unrolled: 1-line block ×3, first 2 shown]
	v_add_f64 v[90:91], v[56:57], -v[66:67]
	v_add_f64 v[147:148], v[62:63], -v[12:13]
	v_add_f64 v[149:150], v[0:1], v[113:114]
	v_fma_f64 v[54:55], v[54:55], -0.5, v[0:1]
	v_add_f64 v[56:57], v[56:57], -v[62:63]
	v_fma_f64 v[0:1], v[145:146], -0.5, v[0:1]
	v_add_f64 v[12:13], v[66:67], -v[12:13]
	v_fma_f64 v[64:65], v[109:110], s[14:15], v[64:65]
	v_fma_f64 v[66:67], v[139:140], s[6:7], v[74:75]
	v_add_f64 v[62:63], v[90:91], v[147:148]
	v_fma_f64 v[44:45], v[109:110], s[4:5], v[44:45]
	v_add_f64 v[74:75], v[149:150], v[117:118]
	v_add_f64 v[109:110], v[113:114], -v[117:118]
	v_fma_f64 v[147:148], v[56:57], s[4:5], v[0:1]
	v_add_f64 v[113:114], v[117:118], -v[113:114]
	v_add_f64 v[117:118], v[111:112], -v[40:41]
	v_fma_f64 v[0:1], v[56:57], s[8:9], v[0:1]
	v_fma_f64 v[90:91], v[12:13], s[8:9], v[54:55]
	v_add_f64 v[145:146], v[40:41], -v[111:112]
	v_fma_f64 v[54:55], v[12:13], s[4:5], v[54:55]
	v_add_f64 v[74:75], v[74:75], v[111:112]
	v_fma_f64 v[44:45], v[139:140], s[14:15], v[44:45]
	v_add_f64 v[111:112], v[113:114], v[117:118]
	v_fma_f64 v[0:1], v[12:13], s[6:7], v[0:1]
	v_fma_f64 v[90:91], v[56:57], s[14:15], v[90:91]
	v_add_f64 v[109:110], v[109:110], v[145:146]
	v_fma_f64 v[54:55], v[56:57], s[6:7], v[54:55]
	v_fma_f64 v[56:57], v[12:13], s[14:15], v[147:148]
	;; [unrolled: 1-line block ×6, first 2 shown]
	v_mov_b32_e32 v1, 3
	v_mul_u32_u24_e32 v0, 0x1b8, v8
	v_lshlrev_b32_sdwa v8, v1, v9 dst_sel:DWORD dst_unused:UNUSED_PAD src0_sel:DWORD src1_sel:BYTE_0
	v_add3_u32 v8, 0, v0, v8
	v_mul_u32_u24_e32 v0, 0x1b8, v10
	v_lshlrev_b32_sdwa v9, v1, v11 dst_sel:DWORD dst_unused:UNUSED_PAD src0_sel:DWORD src1_sel:BYTE_0
	v_add3_u32 v9, 0, v0, v9
	ds_write2_b64 v8, v[115:116], v[32:33] offset1:11
	ds_write2_b64 v8, v[119:120], v[52:53] offset0:22 offset1:33
	ds_write_b64 v8, v[46:47] offset:352
	ds_write2_b64 v9, v[2:3], v[24:25] offset1:11
	ds_write2_b64 v9, v[38:39], v[26:27] offset0:22 offset1:33
	ds_write_b64 v9, v[28:29] offset:352
	v_mul_u32_u24_e32 v0, 0x1b8, v14
	v_lshlrev_b32_sdwa v2, v1, v15 dst_sel:DWORD dst_unused:UNUSED_PAD src0_sel:DWORD src1_sel:BYTE_0
	v_add3_u32 v10, 0, v0, v2
	v_mul_u32_u24_e32 v0, 0x1b8, v16
	v_lshlrev_b32_sdwa v1, v1, v17 dst_sel:DWORD dst_unused:UNUSED_PAD src0_sel:DWORD src1_sel:BYTE_0
	v_add3_u32 v11, 0, v0, v1
	v_mul_u32_u24_e32 v0, 0x1b8, v18
	v_lshlrev_b32_e32 v1, 3, v19
	v_add3_u32 v16, 0, v0, v1
	v_add_f64 v[40:41], v[74:75], v[40:41]
	v_fma_f64 v[66:67], v[109:110], s[16:17], v[90:91]
	v_fma_f64 v[74:75], v[109:110], s[16:17], v[54:55]
	;; [unrolled: 1-line block ×3, first 2 shown]
	ds_write2_b64 v10, v[30:31], v[34:35] offset1:11
	ds_write2_b64 v10, v[58:59], v[22:23] offset0:22 offset1:33
	ds_write_b64 v10, v[36:37] offset:352
	ds_write2_b64 v11, v[50:51], v[48:49] offset1:11
	ds_write2_b64 v11, v[70:71], v[4:5] offset0:22 offset1:33
	ds_write_b64 v11, v[72:73] offset:352
	;; [unrolled: 3-line block ×3, first 2 shown]
	s_waitcnt lgkmcnt(0)
	; wave barrier
	s_waitcnt lgkmcnt(0)
	ds_read2_b64 v[12:15], v92 offset1:55
	ds_read2_b64 v[0:3], v95 offset0:92 offset1:147
	ds_read2_b64 v[23:26], v97 offset0:38 offset1:93
	;; [unrolled: 1-line block ×11, first 2 shown]
	ds_read_b64 v[193:194], v92 offset:10560
	s_waitcnt lgkmcnt(0)
	; wave barrier
	s_waitcnt lgkmcnt(0)
	ds_write2_b64 v8, v[20:21], v[121:122] offset1:11
	ds_write2_b64 v8, v[127:128], v[129:130] offset0:22 offset1:33
	ds_write_b64 v8, v[125:126] offset:352
	ds_write2_b64 v9, v[84:85], v[86:87] offset1:11
	ds_write2_b64 v9, v[137:138], v[143:144] offset0:22 offset1:33
	ds_write_b64 v9, v[123:124] offset:352
	;; [unrolled: 3-line block ×5, first 2 shown]
	v_lshlrev_b32_e32 v80, 2, v136
	v_mov_b32_e32 v81, 0
	v_lshlrev_b64 v[8:9], 4, v[80:81]
	v_mov_b32_e32 v10, s13
	v_add_co_u32_e32 v72, vcc, s12, v8
	v_addc_co_u32_e32 v73, vcc, v10, v9, vcc
	s_waitcnt lgkmcnt(0)
	; wave barrier
	s_waitcnt lgkmcnt(0)
	global_load_dwordx4 v[64:67], v[72:73], off offset:704
	global_load_dwordx4 v[68:71], v[72:73], off offset:720
	global_load_dwordx4 v[74:77], v[72:73], off offset:736
	global_load_dwordx4 v[82:85], v[72:73], off offset:752
	v_mul_lo_u16_sdwa v8, v93, s18 dst_sel:DWORD dst_unused:UNUSED_PAD src0_sel:BYTE_0 src1_sel:DWORD
	v_lshrrev_b16_e32 v8, 13, v8
	v_mul_lo_u16_e32 v8, 55, v8
	v_sub_u16_e32 v8, v93, v8
	v_and_b32_e32 v20, 0xff, v8
	v_lshlrev_b32_e32 v8, 6, v20
	global_load_dwordx4 v[86:89], v8, s[12:13] offset:704
	global_load_dwordx4 v[101:104], v8, s[12:13] offset:720
	;; [unrolled: 1-line block ×4, first 2 shown]
	v_mul_lo_u16_sdwa v8, v42, s18 dst_sel:DWORD dst_unused:UNUSED_PAD src0_sel:BYTE_0 src1_sel:DWORD
	v_lshrrev_b16_e32 v8, 13, v8
	v_mul_lo_u16_e32 v8, 55, v8
	v_sub_u16_e32 v8, v42, v8
	v_and_b32_e32 v21, 0xff, v8
	v_lshlrev_b32_e32 v8, 6, v21
	global_load_dwordx4 v[113:116], v8, s[12:13] offset:704
	global_load_dwordx4 v[117:120], v8, s[12:13] offset:720
	;; [unrolled: 1-line block ×4, first 2 shown]
	s_movk_i32 s18, 0x29e5
	v_mul_u32_u24_sdwa v8, v43, s18 dst_sel:DWORD dst_unused:UNUSED_PAD src0_sel:WORD_0 src1_sel:DWORD
	v_sub_u16_sdwa v9, v43, v8 dst_sel:DWORD dst_unused:UNUSED_PAD src0_sel:DWORD src1_sel:WORD_1
	v_lshrrev_b16_e32 v9, 1, v9
	v_add_u16_sdwa v8, v9, v8 dst_sel:DWORD dst_unused:UNUSED_PAD src0_sel:DWORD src1_sel:WORD_1
	v_lshrrev_b16_e32 v8, 5, v8
	v_mul_lo_u16_e32 v8, 55, v8
	v_sub_u16_e32 v22, v43, v8
	v_lshlrev_b32_e32 v39, 6, v22
	global_load_dwordx4 v[137:140], v39, s[12:13] offset:704
	global_load_dwordx4 v[141:144], v39, s[12:13] offset:720
	ds_read2_b64 v[145:148], v92 offset1:55
	ds_read2_b64 v[8:11], v95 offset0:92 offset1:147
	ds_read2_b64 v[149:152], v97 offset0:38 offset1:93
	;; [unrolled: 1-line block ×8, first 2 shown]
	global_load_dwordx4 v[173:176], v39, s[12:13] offset:752
	global_load_dwordx4 v[177:180], v39, s[12:13] offset:736
	ds_read2_b64 v[181:184], v98 offset0:186 offset1:241
	ds_read2_b64 v[185:188], v96 offset0:184 offset1:239
	;; [unrolled: 1-line block ×3, first 2 shown]
	ds_read_b64 v[195:196], v92 offset:10560
	s_waitcnt lgkmcnt(0)
	; wave barrier
	s_waitcnt vmcnt(15) lgkmcnt(0)
	v_mul_f64 v[39:40], v[10:11], v[66:67]
	v_mul_f64 v[78:79], v[2:3], v[66:67]
	s_waitcnt vmcnt(14)
	v_mul_f64 v[90:91], v[149:150], v[70:71]
	v_mul_f64 v[129:130], v[23:24], v[70:71]
	;; [unrolled: 1-line block ×5, first 2 shown]
	v_fma_f64 v[2:3], v[2:3], v[64:65], -v[39:40]
	s_waitcnt vmcnt(13)
	v_mul_f64 v[39:40], v[155:156], v[76:77]
	v_fma_f64 v[10:11], v[10:11], v[64:65], v[78:79]
	v_fma_f64 v[23:24], v[23:24], v[68:69], -v[90:91]
	v_fma_f64 v[78:79], v[149:150], v[68:69], v[129:130]
	v_mul_f64 v[90:91], v[29:30], v[76:77]
	s_waitcnt vmcnt(12)
	v_mul_f64 v[149:150], v[31:32], v[84:85]
	v_fma_f64 v[35:36], v[35:36], v[64:65], -v[197:198]
	v_fma_f64 v[64:65], v[161:162], v[64:65], v[66:67]
	v_fma_f64 v[29:30], v[29:30], v[74:75], -v[39:40]
	v_mul_f64 v[39:40], v[25:26], v[70:71]
	v_mul_f64 v[66:67], v[165:166], v[76:77]
	;; [unrolled: 1-line block ×3, first 2 shown]
	v_fma_f64 v[70:71], v[155:156], v[74:75], v[90:91]
	v_fma_f64 v[90:91], v[157:158], v[82:83], v[149:150]
	v_fma_f64 v[25:26], v[25:26], v[68:69], -v[199:200]
	s_waitcnt vmcnt(10)
	v_mul_f64 v[149:150], v[169:170], v[103:104]
	v_fma_f64 v[39:40], v[151:152], v[68:69], v[39:40]
	v_mul_f64 v[68:69], v[44:45], v[76:77]
	v_fma_f64 v[44:45], v[44:45], v[74:75], -v[66:67]
	v_mul_f64 v[66:67], v[48:49], v[103:104]
	v_fma_f64 v[31:32], v[31:32], v[82:83], -v[129:130]
	v_mul_f64 v[76:77], v[159:160], v[84:85]
	v_mul_f64 v[84:85], v[33:34], v[84:85]
	;; [unrolled: 1-line block ×4, first 2 shown]
	v_fma_f64 v[48:49], v[48:49], v[101:102], -v[149:150]
	v_fma_f64 v[68:69], v[165:166], v[74:75], v[68:69]
	v_fma_f64 v[66:67], v[169:170], v[101:102], v[66:67]
	s_waitcnt vmcnt(7)
	v_mul_f64 v[101:102], v[185:186], v[115:116]
	v_fma_f64 v[33:34], v[33:34], v[82:83], -v[76:77]
	v_fma_f64 v[74:75], v[159:160], v[82:83], v[84:85]
	v_fma_f64 v[37:38], v[37:38], v[86:87], -v[129:130]
	v_fma_f64 v[76:77], v[163:164], v[86:87], v[88:89]
	v_mul_f64 v[82:83], v[167:168], v[111:112]
	v_mul_f64 v[84:85], v[46:47], v[111:112]
	;; [unrolled: 1-line block ×5, first 2 shown]
	v_fma_f64 v[56:57], v[56:57], v[113:114], -v[101:102]
	s_waitcnt vmcnt(4)
	v_mul_f64 v[101:102], v[189:190], v[127:128]
	v_mul_f64 v[107:108], v[171:172], v[119:120]
	v_fma_f64 v[46:47], v[46:47], v[109:110], -v[82:83]
	v_fma_f64 v[84:85], v[167:168], v[109:110], v[84:85]
	v_fma_f64 v[52:53], v[52:53], v[105:106], -v[86:87]
	v_fma_f64 v[86:87], v[181:182], v[105:106], v[88:89]
	v_fma_f64 v[88:89], v[185:186], v[113:114], v[103:104]
	v_mul_f64 v[103:104], v[60:61], v[127:128]
	s_waitcnt vmcnt(3)
	v_mul_f64 v[109:110], v[187:188], v[139:140]
	s_waitcnt vmcnt(2)
	v_mul_f64 v[113:114], v[153:154], v[143:144]
	v_fma_f64 v[60:61], v[60:61], v[125:126], -v[101:102]
	v_add_f64 v[101:102], v[23:24], v[29:30]
	v_mul_f64 v[82:83], v[50:51], v[119:120]
	v_fma_f64 v[50:51], v[50:51], v[117:118], -v[107:108]
	v_mul_f64 v[105:106], v[183:184], v[123:124]
	v_mul_f64 v[107:108], v[54:55], v[123:124]
	;; [unrolled: 1-line block ×3, first 2 shown]
	v_fma_f64 v[58:59], v[58:59], v[137:138], -v[109:110]
	v_fma_f64 v[109:110], v[27:28], v[141:142], -v[113:114]
	v_fma_f64 v[101:102], v[101:102], -0.5, v[12:13]
	v_add_f64 v[113:114], v[10:11], -v[90:91]
	v_add_f64 v[123:124], v[2:3], v[31:32]
	v_fma_f64 v[82:83], v[171:172], v[117:118], v[82:83]
	v_fma_f64 v[103:104], v[189:190], v[125:126], v[103:104]
	v_fma_f64 v[54:55], v[54:55], v[121:122], -v[105:106]
	v_fma_f64 v[105:106], v[183:184], v[121:122], v[107:108]
	v_fma_f64 v[107:108], v[187:188], v[137:138], v[111:112]
	v_add_f64 v[111:112], v[12:13], v[2:3]
	v_mul_f64 v[27:28], v[27:28], v[143:144]
	s_waitcnt vmcnt(0)
	v_mul_f64 v[115:116], v[191:192], v[179:180]
	v_mul_f64 v[117:118], v[62:63], v[179:180]
	;; [unrolled: 1-line block ×4, first 2 shown]
	v_fma_f64 v[125:126], v[113:114], s[4:5], v[101:102]
	v_add_f64 v[127:128], v[78:79], -v[70:71]
	v_fma_f64 v[12:13], v[123:124], -0.5, v[12:13]
	v_add_f64 v[111:112], v[111:112], v[23:24]
	v_fma_f64 v[27:28], v[153:154], v[141:142], v[27:28]
	v_fma_f64 v[62:63], v[62:63], v[177:178], -v[115:116]
	v_fma_f64 v[115:116], v[191:192], v[177:178], v[117:118]
	v_fma_f64 v[117:118], v[193:194], v[173:174], -v[119:120]
	v_fma_f64 v[119:120], v[195:196], v[173:174], v[121:122]
	v_fma_f64 v[121:122], v[127:128], s[6:7], v[125:126]
	v_add_f64 v[123:124], v[2:3], -v[23:24]
	v_add_f64 v[125:126], v[78:79], v[70:71]
	v_add_f64 v[129:130], v[31:32], -v[29:30]
	v_fma_f64 v[101:102], v[113:114], s[8:9], v[101:102]
	v_fma_f64 v[137:138], v[127:128], s[8:9], v[12:13]
	v_add_f64 v[139:140], v[23:24], -v[2:3]
	v_add_f64 v[141:142], v[29:30], -v[31:32]
	v_fma_f64 v[12:13], v[127:128], s[4:5], v[12:13]
	v_add_f64 v[111:112], v[111:112], v[29:30]
	v_add_f64 v[143:144], v[145:146], v[10:11]
	v_fma_f64 v[125:126], v[125:126], -0.5, v[145:146]
	v_add_f64 v[2:3], v[2:3], -v[31:32]
	v_add_f64 v[123:124], v[123:124], v[129:130]
	v_fma_f64 v[101:102], v[127:128], s[14:15], v[101:102]
	v_fma_f64 v[127:128], v[113:114], s[6:7], v[137:138]
	v_add_f64 v[129:130], v[139:140], v[141:142]
	v_fma_f64 v[12:13], v[113:114], s[14:15], v[12:13]
	v_add_f64 v[113:114], v[10:11], v[90:91]
	v_add_f64 v[137:138], v[143:144], v[78:79]
	v_fma_f64 v[139:140], v[2:3], s[8:9], v[125:126]
	v_add_f64 v[23:24], v[23:24], -v[29:30]
	v_add_f64 v[29:30], v[111:112], v[31:32]
	v_fma_f64 v[31:32], v[123:124], s[16:17], v[121:122]
	v_fma_f64 v[111:112], v[129:130], s[16:17], v[127:128]
	v_fma_f64 v[12:13], v[129:130], s[16:17], v[12:13]
	v_fma_f64 v[113:114], v[113:114], -0.5, v[145:146]
	v_add_f64 v[129:130], v[25:26], v[44:45]
	v_fma_f64 v[101:102], v[123:124], s[16:17], v[101:102]
	v_add_f64 v[121:122], v[137:138], v[70:71]
	v_fma_f64 v[123:124], v[23:24], s[14:15], v[139:140]
	v_add_f64 v[127:128], v[10:11], -v[78:79]
	v_add_f64 v[137:138], v[90:91], -v[70:71]
	v_fma_f64 v[125:126], v[2:3], s[4:5], v[125:126]
	v_fma_f64 v[139:140], v[23:24], s[4:5], v[113:114]
	v_add_f64 v[10:11], v[78:79], -v[10:11]
	v_add_f64 v[70:71], v[70:71], -v[90:91]
	v_fma_f64 v[78:79], v[23:24], s[8:9], v[113:114]
	v_add_f64 v[113:114], v[14:15], v[35:36]
	v_fma_f64 v[129:130], v[129:130], -0.5, v[14:15]
	v_add_f64 v[141:142], v[64:65], -v[74:75]
	v_add_f64 v[127:128], v[127:128], v[137:138]
	v_fma_f64 v[23:24], v[23:24], s[6:7], v[125:126]
	v_fma_f64 v[125:126], v[2:3], s[14:15], v[139:140]
	v_add_f64 v[10:11], v[10:11], v[70:71]
	v_fma_f64 v[2:3], v[2:3], s[6:7], v[78:79]
	v_add_f64 v[70:71], v[35:36], v[33:34]
	v_add_f64 v[78:79], v[113:114], v[25:26]
	v_fma_f64 v[113:114], v[141:142], s[4:5], v[129:130]
	v_add_f64 v[137:138], v[39:40], -v[68:69]
	v_add_f64 v[90:91], v[121:122], v[90:91]
	v_fma_f64 v[121:122], v[127:128], s[16:17], v[123:124]
	v_fma_f64 v[123:124], v[127:128], s[16:17], v[23:24]
	;; [unrolled: 1-line block ×3, first 2 shown]
	v_fma_f64 v[14:15], v[70:71], -0.5, v[14:15]
	v_fma_f64 v[10:11], v[10:11], s[16:17], v[2:3]
	v_add_f64 v[2:3], v[78:79], v[44:45]
	v_fma_f64 v[23:24], v[137:138], s[6:7], v[113:114]
	v_add_f64 v[70:71], v[35:36], -v[25:26]
	v_add_f64 v[78:79], v[39:40], v[68:69]
	v_add_f64 v[113:114], v[33:34], -v[44:45]
	v_fma_f64 v[127:128], v[141:142], s[8:9], v[129:130]
	v_fma_f64 v[129:130], v[137:138], s[8:9], v[14:15]
	v_add_f64 v[139:140], v[25:26], -v[35:36]
	v_add_f64 v[143:144], v[44:45], -v[33:34]
	v_fma_f64 v[14:15], v[137:138], s[4:5], v[14:15]
	v_add_f64 v[145:146], v[147:148], v[64:65]
	v_fma_f64 v[78:79], v[78:79], -0.5, v[147:148]
	v_add_f64 v[35:36], v[35:36], -v[33:34]
	v_add_f64 v[70:71], v[70:71], v[113:114]
	v_fma_f64 v[113:114], v[137:138], s[14:15], v[127:128]
	v_add_f64 v[137:138], v[64:65], v[74:75]
	v_fma_f64 v[127:128], v[141:142], s[6:7], v[129:130]
	;; [unrolled: 2-line block ×4, first 2 shown]
	v_add_f64 v[25:26], v[25:26], -v[44:45]
	v_add_f64 v[2:3], v[2:3], v[33:34]
	v_fma_f64 v[23:24], v[70:71], s[16:17], v[23:24]
	v_fma_f64 v[33:34], v[70:71], s[16:17], v[113:114]
	v_fma_f64 v[70:71], v[137:138], -0.5, v[147:148]
	v_fma_f64 v[44:45], v[129:130], s[16:17], v[127:128]
	v_fma_f64 v[14:15], v[129:130], s[16:17], v[14:15]
	v_add_f64 v[113:114], v[139:140], v[68:69]
	v_fma_f64 v[127:128], v[25:26], s[14:15], v[141:142]
	v_add_f64 v[129:130], v[64:65], -v[39:40]
	v_add_f64 v[137:138], v[48:49], v[46:47]
	v_add_f64 v[139:140], v[74:75], -v[68:69]
	v_fma_f64 v[78:79], v[35:36], s[4:5], v[78:79]
	v_fma_f64 v[141:142], v[25:26], s[4:5], v[70:71]
	v_add_f64 v[39:40], v[39:40], -v[64:65]
	v_add_f64 v[64:65], v[68:69], -v[74:75]
	v_fma_f64 v[68:69], v[25:26], s[8:9], v[70:71]
	v_add_f64 v[70:71], v[4:5], v[37:38]
	v_fma_f64 v[137:138], v[137:138], -0.5, v[4:5]
	v_add_f64 v[143:144], v[76:77], -v[86:87]
	v_fma_f64 v[25:26], v[25:26], s[6:7], v[78:79]
	v_fma_f64 v[78:79], v[35:36], s[14:15], v[141:142]
	v_add_f64 v[129:130], v[129:130], v[139:140]
	v_add_f64 v[39:40], v[39:40], v[64:65]
	v_fma_f64 v[35:36], v[35:36], s[6:7], v[68:69]
	v_add_f64 v[68:69], v[37:38], v[52:53]
	v_add_f64 v[64:65], v[70:71], v[48:49]
	v_fma_f64 v[70:71], v[143:144], s[4:5], v[137:138]
	v_add_f64 v[139:140], v[66:67], -v[84:85]
	v_add_f64 v[74:75], v[113:114], v[74:75]
	v_fma_f64 v[113:114], v[129:130], s[16:17], v[127:128]
	v_fma_f64 v[127:128], v[129:130], s[16:17], v[25:26]
	;; [unrolled: 1-line block ×3, first 2 shown]
	v_fma_f64 v[4:5], v[68:69], -0.5, v[4:5]
	v_fma_f64 v[129:130], v[39:40], s[16:17], v[35:36]
	v_add_f64 v[25:26], v[64:65], v[46:47]
	v_fma_f64 v[35:36], v[139:140], s[6:7], v[70:71]
	v_add_f64 v[39:40], v[37:38], -v[48:49]
	v_add_f64 v[64:65], v[16:17], v[76:77]
	v_add_f64 v[68:69], v[66:67], v[84:85]
	v_add_f64 v[70:71], v[52:53], -v[46:47]
	v_fma_f64 v[137:138], v[143:144], s[8:9], v[137:138]
	v_fma_f64 v[141:142], v[139:140], s[8:9], v[4:5]
	v_add_f64 v[145:146], v[48:49], -v[37:38]
	v_add_f64 v[147:148], v[46:47], -v[52:53]
	v_fma_f64 v[4:5], v[139:140], s[4:5], v[4:5]
	v_add_f64 v[64:65], v[64:65], v[66:67]
	v_fma_f64 v[68:69], v[68:69], -0.5, v[16:17]
	v_add_f64 v[37:38], v[37:38], -v[52:53]
	v_add_f64 v[39:40], v[39:40], v[70:71]
	v_fma_f64 v[70:71], v[139:140], s[14:15], v[137:138]
	v_fma_f64 v[137:138], v[143:144], s[6:7], v[141:142]
	v_add_f64 v[141:142], v[76:77], v[86:87]
	v_add_f64 v[139:140], v[145:146], v[147:148]
	v_fma_f64 v[4:5], v[143:144], s[14:15], v[4:5]
	v_add_f64 v[64:65], v[64:65], v[84:85]
	v_fma_f64 v[143:144], v[37:38], s[8:9], v[68:69]
	v_add_f64 v[46:47], v[48:49], -v[46:47]
	v_add_f64 v[25:26], v[25:26], v[52:53]
	v_fma_f64 v[35:36], v[39:40], s[16:17], v[35:36]
	v_fma_f64 v[16:17], v[141:142], -0.5, v[16:17]
	v_fma_f64 v[39:40], v[39:40], s[16:17], v[70:71]
	v_fma_f64 v[48:49], v[139:140], s[16:17], v[137:138]
	;; [unrolled: 1-line block ×3, first 2 shown]
	v_add_f64 v[137:138], v[64:65], v[86:87]
	v_fma_f64 v[52:53], v[46:47], s[14:15], v[143:144]
	v_add_f64 v[64:65], v[76:77], -v[66:67]
	v_add_f64 v[70:71], v[86:87], -v[84:85]
	v_add_f64 v[139:140], v[6:7], v[56:57]
	v_fma_f64 v[68:69], v[37:38], s[4:5], v[68:69]
	v_add_f64 v[141:142], v[50:51], v[60:61]
	v_fma_f64 v[143:144], v[46:47], s[4:5], v[16:17]
	v_add_f64 v[66:67], v[66:67], -v[76:77]
	v_add_f64 v[76:77], v[84:85], -v[86:87]
	v_fma_f64 v[16:17], v[46:47], s[8:9], v[16:17]
	v_add_f64 v[64:65], v[64:65], v[70:71]
	v_add_f64 v[70:71], v[139:140], v[50:51]
	v_fma_f64 v[46:47], v[46:47], s[6:7], v[68:69]
	v_fma_f64 v[68:69], v[141:142], -0.5, v[6:7]
	v_add_f64 v[84:85], v[88:89], -v[105:106]
	v_fma_f64 v[86:87], v[37:38], s[14:15], v[143:144]
	v_add_f64 v[66:67], v[66:67], v[76:77]
	v_fma_f64 v[16:17], v[37:38], s[6:7], v[16:17]
	v_add_f64 v[37:38], v[56:57], v[54:55]
	v_add_f64 v[70:71], v[70:71], v[60:61]
	v_fma_f64 v[76:77], v[64:65], s[16:17], v[52:53]
	v_fma_f64 v[139:140], v[64:65], s[16:17], v[46:47]
	v_fma_f64 v[46:47], v[84:85], s[4:5], v[68:69]
	v_add_f64 v[52:53], v[82:83], -v[103:104]
	v_fma_f64 v[86:87], v[66:67], s[16:17], v[86:87]
	v_fma_f64 v[16:17], v[66:67], s[16:17], v[16:17]
	v_add_f64 v[64:65], v[56:57], -v[50:51]
	v_add_f64 v[66:67], v[54:55], -v[60:61]
	v_fma_f64 v[68:69], v[84:85], s[8:9], v[68:69]
	v_fma_f64 v[6:7], v[37:38], -0.5, v[6:7]
	v_add_f64 v[37:38], v[70:71], v[54:55]
	v_fma_f64 v[46:47], v[52:53], s[6:7], v[46:47]
	v_add_f64 v[70:71], v[18:19], v[88:89]
	v_add_f64 v[141:142], v[82:83], v[103:104]
	v_add_f64 v[145:146], v[50:51], -v[56:57]
	v_add_f64 v[64:65], v[64:65], v[66:67]
	v_fma_f64 v[66:67], v[52:53], s[14:15], v[68:69]
	v_fma_f64 v[143:144], v[52:53], s[8:9], v[6:7]
	v_add_f64 v[147:148], v[60:61], -v[54:55]
	v_fma_f64 v[6:7], v[52:53], s[4:5], v[6:7]
	v_add_f64 v[52:53], v[70:71], v[82:83]
	v_fma_f64 v[68:69], v[141:142], -0.5, v[18:19]
	v_add_f64 v[54:55], v[56:57], -v[54:55]
	v_fma_f64 v[46:47], v[64:65], s[16:17], v[46:47]
	v_fma_f64 v[64:65], v[64:65], s[16:17], v[66:67]
	v_add_f64 v[66:67], v[88:89], v[105:106]
	v_fma_f64 v[56:57], v[84:85], s[6:7], v[143:144]
	v_add_f64 v[70:71], v[145:146], v[147:148]
	;; [unrolled: 2-line block ×3, first 2 shown]
	v_fma_f64 v[84:85], v[54:55], s[8:9], v[68:69]
	v_add_f64 v[50:51], v[50:51], -v[60:61]
	v_add_f64 v[60:61], v[109:110], v[62:63]
	v_add_f64 v[141:142], v[88:89], -v[82:83]
	v_add_f64 v[143:144], v[105:106], -v[103:104]
	v_fma_f64 v[18:19], v[66:67], -0.5, v[18:19]
	v_fma_f64 v[56:57], v[70:71], s[16:17], v[56:57]
	v_fma_f64 v[6:7], v[70:71], s[16:17], v[6:7]
	v_add_f64 v[145:146], v[52:53], v[105:106]
	v_fma_f64 v[52:53], v[50:51], s[14:15], v[84:85]
	v_add_f64 v[66:67], v[0:1], v[58:59]
	v_fma_f64 v[60:61], v[60:61], -0.5, v[0:1]
	v_add_f64 v[70:71], v[107:108], -v[119:120]
	v_add_f64 v[84:85], v[141:142], v[143:144]
	v_fma_f64 v[68:69], v[54:55], s[4:5], v[68:69]
	v_fma_f64 v[141:142], v[50:51], s[4:5], v[18:19]
	v_add_f64 v[82:83], v[82:83], -v[88:89]
	v_add_f64 v[88:89], v[103:104], -v[105:106]
	v_fma_f64 v[18:19], v[50:51], s[8:9], v[18:19]
	v_add_f64 v[66:67], v[66:67], v[109:110]
	v_fma_f64 v[103:104], v[70:71], s[4:5], v[60:61]
	v_add_f64 v[105:106], v[27:28], -v[115:116]
	v_fma_f64 v[50:51], v[50:51], s[6:7], v[68:69]
	v_fma_f64 v[141:142], v[54:55], s[14:15], v[141:142]
	v_add_f64 v[143:144], v[58:59], -v[109:110]
	v_add_f64 v[82:83], v[82:83], v[88:89]
	v_add_f64 v[147:148], v[117:118], -v[62:63]
	v_add_f64 v[68:69], v[58:59], v[117:118]
	v_fma_f64 v[18:19], v[54:55], s[6:7], v[18:19]
	v_add_f64 v[54:55], v[66:67], v[62:63]
	v_fma_f64 v[66:67], v[105:106], s[6:7], v[103:104]
	v_fma_f64 v[103:104], v[84:85], s[16:17], v[52:53]
	;; [unrolled: 1-line block ×4, first 2 shown]
	v_add_f64 v[52:53], v[27:28], v[115:116]
	v_add_f64 v[141:142], v[107:108], v[119:120]
	;; [unrolled: 1-line block ×3, first 2 shown]
	v_fma_f64 v[0:1], v[68:69], -0.5, v[0:1]
	v_fma_f64 v[60:61], v[70:71], s[8:9], v[60:61]
	v_add_f64 v[68:69], v[109:110], -v[58:59]
	v_add_f64 v[143:144], v[62:63], -v[117:118]
	v_add_f64 v[147:148], v[8:9], v[107:108]
	v_fma_f64 v[52:53], v[52:53], -0.5, v[8:9]
	v_add_f64 v[58:59], v[58:59], -v[117:118]
	v_add_f64 v[62:63], v[109:110], -v[62:63]
	v_fma_f64 v[8:9], v[141:142], -0.5, v[8:9]
	v_fma_f64 v[82:83], v[82:83], s[16:17], v[18:19]
	v_add_f64 v[18:19], v[54:55], v[117:118]
	v_fma_f64 v[54:55], v[88:89], s[16:17], v[66:67]
	v_fma_f64 v[66:67], v[105:106], s[8:9], v[0:1]
	v_fma_f64 v[0:1], v[105:106], s[4:5], v[0:1]
	v_fma_f64 v[60:61], v[105:106], s[14:15], v[60:61]
	v_add_f64 v[68:69], v[68:69], v[143:144]
	v_add_f64 v[105:106], v[147:148], v[27:28]
	v_fma_f64 v[109:110], v[58:59], s[8:9], v[52:53]
	v_add_f64 v[117:118], v[107:108], -v[27:28]
	v_add_f64 v[141:142], v[119:120], -v[115:116]
	v_fma_f64 v[52:53], v[58:59], s[4:5], v[52:53]
	v_fma_f64 v[143:144], v[62:63], s[4:5], v[8:9]
	v_add_f64 v[27:28], v[27:28], -v[107:108]
	v_add_f64 v[107:108], v[115:116], -v[119:120]
	v_fma_f64 v[8:9], v[62:63], s[8:9], v[8:9]
	v_fma_f64 v[66:67], v[70:71], s[6:7], v[66:67]
	;; [unrolled: 1-line block ×3, first 2 shown]
	v_add_f64 v[70:71], v[105:106], v[115:116]
	v_fma_f64 v[105:106], v[62:63], s[14:15], v[109:110]
	v_add_f64 v[109:110], v[117:118], v[141:142]
	v_fma_f64 v[52:53], v[62:63], s[6:7], v[52:53]
	v_fma_f64 v[62:63], v[58:59], s[14:15], v[143:144]
	v_add_f64 v[27:28], v[27:28], v[107:108]
	v_fma_f64 v[8:9], v[58:59], s[6:7], v[8:9]
	v_fma_f64 v[58:59], v[88:89], s[16:17], v[60:61]
	;; [unrolled: 1-line block ×4, first 2 shown]
	ds_write2_b64 v92, v[29:30], v[31:32] offset1:55
	ds_write2_b64 v92, v[111:112], v[12:13] offset0:110 offset1:165
	ds_write2_b64 v95, v[101:102], v[2:3] offset0:92 offset1:147
	;; [unrolled: 1-line block ×4, first 2 shown]
	v_lshl_add_u32 v12, v20, 3, 0
	v_add_u32_e32 v13, 0x1000, v12
	ds_write2_b64 v13, v[25:26], v[35:36] offset0:38 offset1:93
	ds_write2_b64 v13, v[48:49], v[4:5] offset0:148 offset1:203
	ds_write_b64 v12, v[39:40] offset:6160
	v_lshl_add_u32 v14, v21, 3, 0
	v_lshl_add_u32 v48, v22, 3, 0
	v_add_u32_e32 v15, 0x1800, v14
	v_add_u32_e32 v49, 0x2000, v48
	v_add_f64 v[88:89], v[70:71], v[119:120]
	v_fma_f64 v[105:106], v[109:110], s[16:17], v[105:106]
	v_fma_f64 v[107:108], v[109:110], s[16:17], v[52:53]
	;; [unrolled: 1-line block ×4, first 2 shown]
	ds_write2_b64 v15, v[37:38], v[46:47] offset0:57 offset1:112
	ds_write2_b64 v15, v[56:57], v[6:7] offset0:167 offset1:222
	ds_write_b64 v14, v[64:65] offset:8360
	ds_write2_b64 v49, v[18:19], v[54:55] offset0:76 offset1:131
	ds_write2_b64 v49, v[60:61], v[0:1] offset0:186 offset1:241
	ds_write_b64 v48, v[58:59] offset:10560
	s_waitcnt lgkmcnt(0)
	; wave barrier
	s_waitcnt lgkmcnt(0)
	ds_read2_b64 v[0:3], v92 offset1:55
	ds_read2_b64 v[18:21], v95 offset0:92 offset1:147
	ds_read2_b64 v[26:29], v97 offset0:38 offset1:93
	;; [unrolled: 1-line block ×11, first 2 shown]
	ds_read_b64 v[8:9], v92 offset:10560
	s_waitcnt lgkmcnt(0)
	; wave barrier
	s_waitcnt lgkmcnt(0)
	ds_write2_b64 v92, v[90:91], v[121:122] offset1:55
	ds_write2_b64 v92, v[125:126], v[10:11] offset0:110 offset1:165
	ds_write2_b64 v95, v[123:124], v[74:75] offset0:92 offset1:147
	;; [unrolled: 1-line block ×6, first 2 shown]
	ds_write_b64 v12, v[139:140] offset:6160
	ds_write2_b64 v15, v[145:146], v[103:104] offset0:57 offset1:112
	ds_write2_b64 v15, v[84:85], v[82:83] offset0:167 offset1:222
	ds_write_b64 v14, v[50:51] offset:8360
	ds_write2_b64 v49, v[88:89], v[105:106] offset0:76 offset1:131
	ds_write2_b64 v49, v[62:63], v[109:110] offset0:186 offset1:241
	ds_write_b64 v48, v[107:108] offset:10560
	s_waitcnt lgkmcnt(0)
	; wave barrier
	s_waitcnt lgkmcnt(0)
	s_and_saveexec_b64 s[18:19], s[0:1]
	s_cbranch_execz .LBB0_21
; %bb.20:
	v_lshlrev_b32_e32 v80, 2, v43
	v_lshlrev_b64 v[10:11], 4, v[80:81]
	v_mov_b32_e32 v74, s13
	v_add_co_u32_e32 v10, vcc, s12, v10
	v_addc_co_u32_e32 v43, vcc, v74, v11, vcc
	s_movk_i32 s1, 0x1080
	v_add_co_u32_e32 v56, vcc, s1, v10
	v_addc_co_u32_e32 v57, vcc, 0, v43, vcc
	s_movk_i32 s0, 0x1000
	v_add_co_u32_e32 v58, vcc, s0, v10
	v_addc_co_u32_e32 v59, vcc, 0, v43, vcc
	global_load_dwordx4 v[10:13], v[56:57], off offset:32
	global_load_dwordx4 v[14:17], v[56:57], off offset:16
	;; [unrolled: 1-line block ×4, first 2 shown]
	v_mul_lo_u32 v95, s3, v134
	v_mul_lo_u32 v96, s2, v135
	v_mad_u64_u32 v[82:83], s[2:3], s2, v134, 0
	v_add_u32_e32 v131, 0x1800, v92
	v_add_u32_e32 v43, 0x1c00, v92
	;; [unrolled: 1-line block ×3, first 2 shown]
	v_lshlrev_b32_e32 v80, 2, v42
	v_add_u32_e32 v147, 0x800, v92
	ds_read_b64 v[111:112], v92 offset:10560
	ds_read2_b64 v[56:59], v131 offset0:2 offset1:57
	ds_read2_b64 v[84:87], v147 offset0:184 offset1:239
	;; [unrolled: 1-line block ×4, first 2 shown]
	v_lshlrev_b64 v[42:43], 4, v[80:81]
	v_lshlrev_b32_e32 v80, 2, v93
	v_add_co_u32_e32 v93, vcc, s12, v42
	v_add3_u32 v83, v83, v96, v95
	v_addc_co_u32_e32 v95, vcc, v74, v43, vcc
	v_add_co_u32_e32 v42, vcc, s1, v93
	v_addc_co_u32_e32 v43, vcc, 0, v95, vcc
	v_add_co_u32_e32 v113, vcc, s0, v93
	v_addc_co_u32_e32 v114, vcc, 0, v95, vcc
	global_load_dwordx4 v[95:98], v[113:114], off offset:128
	global_load_dwordx4 v[99:102], v[42:43], off offset:48
	;; [unrolled: 1-line block ×4, first 2 shown]
	v_lshlrev_b64 v[79:80], 4, v[80:81]
	v_add_u32_e32 v155, 0x1000, v92
	v_add_co_u32_e32 v93, vcc, s12, v79
	v_addc_co_u32_e32 v119, vcc, v74, v80, vcc
	v_add_co_u32_e32 v42, vcc, s1, v93
	v_addc_co_u32_e32 v43, vcc, 0, v119, vcc
	v_add_u32_e32 v156, 0x2000, v92
	s_movk_i32 s2, 0x2000
	s_waitcnt vmcnt(7)
	v_mul_f64 v[113:114], v[36:37], v[12:13]
	s_waitcnt vmcnt(6)
	v_mul_f64 v[79:80], v[30:31], v[16:17]
	s_waitcnt lgkmcnt(3)
	v_mul_f64 v[16:17], v[56:57], v[16:17]
	s_waitcnt lgkmcnt(1)
	v_mul_f64 v[12:13], v[90:91], v[12:13]
	s_waitcnt vmcnt(5)
	v_mul_f64 v[115:116], v[6:7], v[50:51]
	s_waitcnt vmcnt(4)
	v_mul_f64 v[117:118], v[8:9], v[77:78]
	v_mul_f64 v[50:51], v[86:87], v[50:51]
	;; [unrolled: 1-line block ×3, first 2 shown]
	v_fma_f64 v[56:57], v[56:57], v[14:15], v[79:80]
	v_fma_f64 v[79:80], v[90:91], v[10:11], v[113:114]
	v_fma_f64 v[16:17], v[30:31], v[14:15], -v[16:17]
	v_fma_f64 v[30:31], v[36:37], v[10:11], -v[12:13]
	v_fma_f64 v[10:11], v[86:87], v[48:49], v[115:116]
	v_fma_f64 v[12:13], v[111:112], v[75:76], v[117:118]
	v_fma_f64 v[6:7], v[6:7], v[48:49], -v[50:51]
	v_fma_f64 v[48:49], v[8:9], v[75:76], -v[77:78]
	v_add_co_u32_e32 v8, vcc, s0, v93
	v_add_f64 v[36:37], v[56:57], v[79:80]
	v_add_f64 v[75:76], v[16:17], v[30:31]
	v_addc_co_u32_e32 v9, vcc, 0, v119, vcc
	v_add_f64 v[111:112], v[10:11], v[12:13]
	v_add_f64 v[123:124], v[6:7], v[48:49]
	v_add_f64 v[14:15], v[16:17], -v[30:31]
	v_add_f64 v[77:78], v[56:57], -v[10:11]
	;; [unrolled: 1-line block ×6, first 2 shown]
	s_waitcnt lgkmcnt(0)
	v_add_f64 v[117:118], v[10:11], v[60:61]
	v_add_f64 v[119:120], v[16:17], -v[6:7]
	v_add_f64 v[125:126], v[6:7], -v[16:17]
	v_add_f64 v[134:135], v[18:19], v[6:7]
	v_fma_f64 v[6:7], v[36:37], -0.5, v[60:61]
	v_fma_f64 v[60:61], v[111:112], -0.5, v[60:61]
	v_add_f64 v[50:51], v[56:57], -v[79:80]
	v_add_f64 v[10:11], v[10:11], -v[12:13]
	v_fma_f64 v[36:37], v[75:76], -0.5, v[18:19]
	v_fma_f64 v[18:19], v[123:124], -0.5, v[18:19]
	v_add_f64 v[75:76], v[77:78], v[86:87]
	v_add_f64 v[77:78], v[113:114], v[115:116]
	v_add_f64 v[56:57], v[56:57], v[117:118]
	v_fma_f64 v[111:112], v[90:91], s[4:5], v[6:7]
	v_fma_f64 v[6:7], v[90:91], s[8:9], v[6:7]
	v_fma_f64 v[115:116], v[14:15], s[8:9], v[60:61]
	v_fma_f64 v[60:61], v[14:15], s[4:5], v[60:61]
	v_add_f64 v[121:122], v[30:31], -v[48:49]
	v_fma_f64 v[113:114], v[10:11], s[8:9], v[36:37]
	v_fma_f64 v[139:140], v[10:11], s[4:5], v[36:37]
	;; [unrolled: 1-line block ×4, first 2 shown]
	v_add_f64 v[56:57], v[79:80], v[56:57]
	v_fma_f64 v[79:80], v[14:15], s[6:7], v[111:112]
	v_fma_f64 v[14:15], v[14:15], s[14:15], v[6:7]
	;; [unrolled: 1-line block ×4, first 2 shown]
	v_add_f64 v[86:87], v[119:120], v[121:122]
	v_fma_f64 v[90:91], v[50:51], s[14:15], v[113:114]
	v_fma_f64 v[113:114], v[10:11], s[14:15], v[36:37]
	v_fma_f64 v[115:116], v[10:11], s[6:7], v[18:19]
	v_fma_f64 v[6:7], v[77:78], s[16:17], v[79:80]
	v_fma_f64 v[18:19], v[77:78], s[16:17], v[14:15]
	v_fma_f64 v[10:11], v[75:76], s[16:17], v[111:112]
	v_fma_f64 v[14:15], v[75:76], s[16:17], v[60:61]
	global_load_dwordx4 v[75:78], v[8:9], off offset:128
	v_add_f64 v[127:128], v[48:49], -v[30:31]
	v_fma_f64 v[8:9], v[86:87], s[16:17], v[113:114]
	global_load_dwordx4 v[111:114], v[42:43], off offset:48
	v_add_f64 v[36:37], v[12:13], v[56:57]
	v_fma_f64 v[12:13], v[86:87], s[16:17], v[115:116]
	global_load_dwordx4 v[115:118], v[42:43], off offset:32
	global_load_dwordx4 v[119:122], v[42:43], off offset:16
	s_waitcnt vmcnt(7)
	v_mul_f64 v[56:57], v[4:5], v[97:98]
	s_waitcnt vmcnt(6)
	v_mul_f64 v[42:43], v[66:67], v[101:102]
	v_add_f64 v[137:138], v[125:126], v[127:128]
	ds_read2_b64 v[123:126], v155 offset0:148 offset1:203
	ds_read2_b64 v[127:130], v156 offset0:186 offset1:241
	s_waitcnt vmcnt(4)
	v_mul_f64 v[60:61], v[70:71], v[109:110]
	v_fma_f64 v[50:51], v[50:51], s[6:7], v[139:140]
	v_mul_f64 v[79:80], v[34:35], v[105:106]
	v_fma_f64 v[56:57], v[84:85], v[95:96], v[56:57]
	s_waitcnt lgkmcnt(0)
	v_fma_f64 v[139:140], v[129:130], v[99:100], v[42:43]
	v_mul_f64 v[42:43], v[125:126], v[109:110]
	v_mul_f64 v[86:87], v[88:89], v[105:106]
	v_add_f64 v[16:17], v[16:17], v[134:135]
	v_fma_f64 v[60:61], v[125:126], v[107:108], v[60:61]
	v_mul_f64 v[97:98], v[84:85], v[97:98]
	v_mul_f64 v[101:102], v[129:130], v[101:102]
	v_fma_f64 v[79:80], v[88:89], v[103:104], v[79:80]
	v_add_f64 v[88:89], v[56:57], v[139:140]
	v_fma_f64 v[125:126], v[70:71], v[107:108], -v[42:43]
	v_fma_f64 v[129:130], v[34:35], v[103:104], -v[86:87]
	ds_read2_b64 v[84:87], v92 offset0:110 offset1:165
	v_add_f64 v[30:31], v[16:17], v[30:31]
	v_fma_f64 v[95:96], v[4:5], v[95:96], -v[97:98]
	v_fma_f64 v[134:135], v[66:67], v[99:100], -v[101:102]
	v_add_f64 v[42:43], v[60:61], v[79:80]
	s_waitcnt lgkmcnt(0)
	v_fma_f64 v[66:67], v[88:89], -0.5, v[86:87]
	v_fma_f64 v[4:5], v[137:138], s[16:17], v[90:91]
	v_add_f64 v[70:71], v[125:126], -v[129:130]
	v_fma_f64 v[16:17], v[137:138], s[16:17], v[50:51]
	v_add_f64 v[34:35], v[30:31], v[48:49]
	v_add_f64 v[30:31], v[60:61], -v[56:57]
	v_add_f64 v[48:49], v[95:96], -v[134:135]
	v_fma_f64 v[42:43], v[42:43], -0.5, v[86:87]
	v_add_f64 v[50:51], v[79:80], -v[139:140]
	v_add_f64 v[90:91], v[95:96], v[134:135]
	v_fma_f64 v[88:89], v[70:71], s[8:9], v[66:67]
	v_fma_f64 v[66:67], v[70:71], s[4:5], v[66:67]
	v_add_f64 v[97:98], v[56:57], -v[60:61]
	v_add_f64 v[99:100], v[139:140], -v[79:80]
	;; [unrolled: 1-line block ×3, first 2 shown]
	v_fma_f64 v[101:102], v[48:49], s[4:5], v[42:43]
	v_add_f64 v[30:31], v[30:31], v[50:51]
	v_add_f64 v[50:51], v[56:57], v[86:87]
	v_fma_f64 v[86:87], v[48:49], s[6:7], v[88:89]
	v_fma_f64 v[88:89], v[90:91], -0.5, v[54:55]
	v_add_f64 v[90:91], v[60:61], -v[79:80]
	v_fma_f64 v[66:67], v[48:49], s[14:15], v[66:67]
	v_add_f64 v[97:98], v[97:98], v[99:100]
	v_fma_f64 v[99:100], v[70:71], s[6:7], v[101:102]
	v_fma_f64 v[48:49], v[48:49], s[8:9], v[42:43]
	v_add_f64 v[60:61], v[60:61], v[50:51]
	v_add_f64 v[101:102], v[125:126], -v[95:96]
	v_add_f64 v[109:110], v[56:57], -v[139:140]
	v_fma_f64 v[107:108], v[90:91], s[4:5], v[88:89]
	v_add_f64 v[105:106], v[125:126], v[129:130]
	v_fma_f64 v[50:51], v[30:31], s[16:17], v[86:87]
	v_fma_f64 v[56:57], v[30:31], s[16:17], v[66:67]
	;; [unrolled: 1-line block ×3, first 2 shown]
	v_add_f64 v[48:49], v[79:80], v[60:61]
	v_add_f64 v[141:142], v[101:102], v[103:104]
	v_fma_f64 v[42:43], v[97:98], s[16:17], v[99:100]
	v_fma_f64 v[79:80], v[109:110], s[14:15], v[107:108]
	;; [unrolled: 1-line block ×3, first 2 shown]
	v_add_f64 v[88:89], v[95:96], -v[125:126]
	v_add_f64 v[99:100], v[134:135], -v[129:130]
	v_fma_f64 v[60:61], v[105:106], -0.5, v[54:55]
	v_add_f64 v[70:71], v[139:140], v[48:49]
	v_fma_f64 v[66:67], v[97:98], s[16:17], v[30:31]
	v_add_f64 v[54:55], v[54:55], v[95:96]
	v_fma_f64 v[48:49], v[141:142], s[16:17], v[79:80]
	v_fma_f64 v[143:144], v[109:110], s[6:7], v[86:87]
	ds_read2_b64 v[95:98], v131 offset0:112 offset1:167
	v_add_f64 v[145:146], v[88:89], v[99:100]
	s_waitcnt vmcnt(3)
	v_mul_f64 v[79:80], v[40:41], v[77:78]
	ds_read2_b64 v[86:89], v147 offset0:74 offset1:129
	v_fma_f64 v[30:31], v[109:110], s[8:9], v[60:61]
	v_fma_f64 v[60:61], v[109:110], s[4:5], v[60:61]
	s_waitcnt vmcnt(2)
	v_mul_f64 v[99:100], v[64:65], v[113:114]
	s_waitcnt vmcnt(1)
	v_mul_f64 v[149:150], v[46:47], v[117:118]
	s_waitcnt lgkmcnt(0)
	v_mul_f64 v[77:78], v[88:89], v[77:78]
	v_add_f64 v[54:55], v[125:126], v[54:55]
	v_fma_f64 v[147:148], v[88:89], v[75:76], v[79:80]
	v_lshlrev_b32_e32 v80, 2, v94
	v_lshlrev_b64 v[79:80], 4, v[80:81]
	v_fma_f64 v[30:31], v[90:91], s[14:15], v[30:31]
	v_add_co_u32_e32 v93, vcc, s12, v79
	v_addc_co_u32_e32 v74, vcc, v74, v80, vcc
	v_add_co_u32_e32 v79, vcc, s0, v93
	v_addc_co_u32_e32 v80, vcc, 0, v74, vcc
	v_fma_f64 v[60:61], v[90:91], s[6:7], v[60:61]
	s_waitcnt vmcnt(0)
	v_mul_f64 v[90:91], v[68:69], v[121:122]
	v_fma_f64 v[151:152], v[127:128], v[111:112], v[99:100]
	global_load_dwordx4 v[99:102], v[79:80], off offset:128
	v_add_co_u32_e32 v79, vcc, s1, v93
	v_addc_co_u32_e32 v80, vcc, 0, v74, vcc
	global_load_dwordx4 v[103:106], v[79:80], off offset:48
	global_load_dwordx4 v[107:110], v[79:80], off offset:32
	;; [unrolled: 1-line block ×3, first 2 shown]
	v_mul_f64 v[121:122], v[123:124], v[121:122]
	v_mul_f64 v[79:80], v[97:98], v[117:118]
	v_fma_f64 v[90:91], v[123:124], v[119:120], v[90:91]
	v_mul_f64 v[88:89], v[127:128], v[113:114]
	v_fma_f64 v[93:94], v[97:98], v[115:116], v[149:150]
	v_add_f64 v[97:98], v[147:148], v[151:152]
	v_fma_f64 v[76:77], v[40:41], v[75:76], -v[77:78]
	v_fma_f64 v[40:41], v[145:146], s[16:17], v[30:31]
	v_fma_f64 v[123:124], v[68:69], v[119:120], -v[121:122]
	v_fma_f64 v[149:150], v[46:47], v[115:116], -v[79:80]
	v_add_f64 v[46:47], v[54:55], v[129:130]
	v_fma_f64 v[153:154], v[64:65], v[111:112], -v[88:89]
	v_add_f64 v[68:69], v[90:91], v[93:94]
	v_add_f64 v[79:80], v[90:91], -v[147:148]
	v_add_f64 v[74:75], v[93:94], -v[151:152]
	v_fma_f64 v[88:89], v[97:98], -0.5, v[84:85]
	v_fma_f64 v[64:65], v[145:146], s[16:17], v[60:61]
	v_add_f64 v[97:98], v[123:124], -v[149:150]
	v_add_f64 v[111:112], v[147:148], -v[90:91]
	;; [unrolled: 1-line block ×3, first 2 shown]
	v_fma_f64 v[60:61], v[68:69], -0.5, v[84:85]
	v_add_f64 v[68:69], v[46:47], v[134:135]
	v_add_f64 v[46:47], v[79:80], v[74:75]
	;; [unrolled: 1-line block ×3, first 2 shown]
	v_add_f64 v[113:114], v[151:152], -v[93:94]
	v_fma_f64 v[74:75], v[97:98], s[8:9], v[88:89]
	v_fma_f64 v[88:89], v[97:98], s[4:5], v[88:89]
	v_add_f64 v[84:85], v[147:148], v[84:85]
	v_fma_f64 v[115:116], v[30:31], s[4:5], v[60:61]
	v_fma_f64 v[60:61], v[30:31], s[8:9], v[60:61]
	v_add_f64 v[134:135], v[90:91], -v[93:94]
	v_fma_f64 v[117:118], v[78:79], -0.5, v[52:53]
	v_add_f64 v[78:79], v[111:112], v[113:114]
	v_fma_f64 v[74:75], v[30:31], s[6:7], v[74:75]
	v_fma_f64 v[30:31], v[30:31], s[14:15], v[88:89]
	v_add_f64 v[84:85], v[90:91], v[84:85]
	v_fma_f64 v[88:89], v[97:98], s[6:7], v[115:116]
	v_fma_f64 v[60:61], v[97:98], s[14:15], v[60:61]
	v_add_f64 v[90:91], v[123:124], -v[76:77]
	v_add_f64 v[97:98], v[149:150], -v[153:154]
	v_fma_f64 v[111:112], v[134:135], s[4:5], v[117:118]
	v_add_f64 v[125:126], v[147:148], -v[151:152]
	v_fma_f64 v[74:75], v[46:47], s[16:17], v[74:75]
	v_fma_f64 v[46:47], v[46:47], s[16:17], v[30:31]
	;; [unrolled: 1-line block ×3, first 2 shown]
	v_add_f64 v[88:89], v[123:124], v[149:150]
	v_fma_f64 v[78:79], v[78:79], s[16:17], v[60:61]
	v_add_f64 v[60:61], v[93:94], v[84:85]
	v_add_f64 v[93:94], v[90:91], v[97:98]
	v_add_co_u32_e32 v97, vcc, s1, v72
	v_addc_co_u32_e32 v98, vcc, 0, v73, vcc
	v_add_co_u32_e32 v72, vcc, s0, v72
	v_addc_co_u32_e32 v73, vcc, 0, v73, vcc
	v_fma_f64 v[54:55], v[141:142], s[16:17], v[143:144]
	v_fma_f64 v[84:85], v[125:126], s[14:15], v[111:112]
	v_fma_f64 v[143:144], v[88:89], -0.5, v[52:53]
	global_load_dwordx4 v[88:91], v[72:73], off offset:128
	global_load_dwordx4 v[111:114], v[97:98], off offset:48
	v_fma_f64 v[127:128], v[134:135], s[8:9], v[117:118]
	global_load_dwordx4 v[115:118], v[97:98], off offset:32
	global_load_dwordx4 v[119:122], v[97:98], off offset:16
	v_add_f64 v[129:130], v[76:77], -v[123:124]
	v_add_f64 v[141:142], v[153:154], -v[149:150]
	v_add_f64 v[52:53], v[52:53], v[76:77]
	v_fma_f64 v[72:73], v[93:94], s[16:17], v[84:85]
	v_fma_f64 v[145:146], v[125:126], s[8:9], v[143:144]
	;; [unrolled: 1-line block ×3, first 2 shown]
	v_add_f64 v[97:98], v[151:152], v[60:61]
	v_fma_f64 v[60:61], v[125:126], s[6:7], v[127:128]
	s_mov_b32 s1, 0xdca01dcb
	v_add_f64 v[76:77], v[129:130], v[141:142]
	v_add_f64 v[52:53], v[123:124], v[52:53]
	s_waitcnt vmcnt(7)
	v_mul_f64 v[141:142], v[38:39], v[101:102]
	v_fma_f64 v[143:144], v[134:135], s[14:15], v[145:146]
	ds_read2_b64 v[123:126], v156 offset0:76 offset1:131
	ds_read2_b64 v[127:130], v155 offset0:38 offset1:93
	s_waitcnt vmcnt(6)
	v_mul_f64 v[145:146], v[24:25], v[105:106]
	v_fma_f64 v[134:135], v[134:135], s[6:7], v[84:85]
	s_waitcnt vmcnt(4)
	v_mul_f64 v[147:148], v[28:29], v[139:140]
	v_mul_f64 v[84:85], v[44:45], v[109:110]
	s_waitcnt lgkmcnt(0)
	v_mul_f64 v[139:140], v[129:130], v[139:140]
	v_fma_f64 v[141:142], v[86:87], v[99:100], v[141:142]
	v_mul_f64 v[109:110], v[95:96], v[109:110]
	v_mul_f64 v[101:102], v[86:87], v[101:102]
	v_fma_f64 v[145:146], v[125:126], v[103:104], v[145:146]
	v_mul_f64 v[105:106], v[125:126], v[105:106]
	v_fma_f64 v[129:130], v[129:130], v[137:138], v[147:148]
	v_fma_f64 v[125:126], v[95:96], v[107:108], v[84:85]
	v_fma_f64 v[137:138], v[28:29], v[137:138], -v[139:140]
	ds_read2_b64 v[84:87], v92 offset1:55
	v_fma_f64 v[107:108], v[44:45], v[107:108], -v[109:110]
	v_add_f64 v[52:53], v[52:53], v[149:150]
	v_add_f64 v[95:96], v[141:142], v[145:146]
	v_fma_f64 v[38:39], v[38:39], v[99:100], -v[101:102]
	v_add_f64 v[109:110], v[129:130], -v[141:142]
	v_fma_f64 v[103:104], v[24:25], v[103:104], -v[105:106]
	v_add_f64 v[24:25], v[129:130], v[125:126]
	v_add_f64 v[99:100], v[125:126], -v[145:146]
	v_add_f64 v[105:106], v[137:138], -v[107:108]
	v_fma_f64 v[44:45], v[93:94], s[16:17], v[60:61]
	s_waitcnt lgkmcnt(0)
	v_fma_f64 v[101:102], v[95:96], -0.5, v[86:87]
	v_add_f64 v[95:96], v[52:53], v[153:154]
	v_fma_f64 v[28:29], v[76:77], s[16:17], v[143:144]
	v_add_f64 v[60:61], v[38:39], -v[103:104]
	v_fma_f64 v[24:25], v[24:25], -0.5, v[86:87]
	v_add_f64 v[52:53], v[109:110], v[99:100]
	v_fma_f64 v[76:77], v[76:77], s[16:17], v[134:135]
	v_add_f64 v[109:110], v[141:142], -v[129:130]
	v_fma_f64 v[92:93], v[105:106], s[8:9], v[101:102]
	v_fma_f64 v[99:100], v[105:106], s[4:5], v[101:102]
	v_add_f64 v[101:102], v[38:39], v[103:104]
	v_add_f64 v[134:135], v[145:146], -v[125:126]
	v_fma_f64 v[139:140], v[60:61], s[4:5], v[24:25]
	v_fma_f64 v[24:25], v[60:61], s[8:9], v[24:25]
	v_add_f64 v[86:87], v[141:142], v[86:87]
	v_add_f64 v[143:144], v[129:130], -v[125:126]
	v_fma_f64 v[92:93], v[60:61], s[6:7], v[92:93]
	v_fma_f64 v[60:61], v[60:61], s[14:15], v[99:100]
	v_fma_f64 v[147:148], v[101:102], -0.5, v[2:3]
	v_add_f64 v[99:100], v[109:110], v[134:135]
	v_fma_f64 v[109:110], v[105:106], s[6:7], v[139:140]
	v_fma_f64 v[105:106], v[105:106], s[14:15], v[24:25]
	v_add_f64 v[86:87], v[129:130], v[86:87]
	v_add_f64 v[129:130], v[137:138], -v[38:39]
	v_add_f64 v[134:135], v[107:108], -v[103:104]
	;; [unrolled: 1-line block ×3, first 2 shown]
	v_fma_f64 v[139:140], v[143:144], s[4:5], v[147:148]
	v_fma_f64 v[101:102], v[52:53], s[16:17], v[92:93]
	;; [unrolled: 1-line block ×4, first 2 shown]
	v_add_f64 v[86:87], v[125:126], v[86:87]
	v_fma_f64 v[92:93], v[99:100], s[16:17], v[105:106]
	v_add_f64 v[105:106], v[129:130], v[134:135]
	v_add_f64 v[52:53], v[137:138], v[107:108]
	v_fma_f64 v[99:100], v[141:142], s[14:15], v[139:140]
	v_fma_f64 v[109:110], v[143:144], s[8:9], v[147:148]
	v_add_f64 v[125:126], v[38:39], -v[137:138]
	v_add_f64 v[129:130], v[103:104], -v[107:108]
	s_waitcnt vmcnt(3)
	v_mul_f64 v[134:135], v[20:21], v[90:91]
	s_waitcnt vmcnt(2)
	v_mul_f64 v[139:140], v[22:23], v[113:114]
	v_add_f64 v[86:87], v[145:146], v[86:87]
	s_waitcnt vmcnt(0)
	v_mul_f64 v[145:146], v[26:27], v[121:122]
	v_mul_f64 v[147:148], v[32:33], v[117:118]
	;; [unrolled: 1-line block ×4, first 2 shown]
	v_fma_f64 v[52:53], v[52:53], -0.5, v[2:3]
	v_fma_f64 v[134:135], v[62:63], v[88:89], v[134:135]
	v_fma_f64 v[139:140], v[123:124], v[111:112], v[139:140]
	v_mul_f64 v[62:63], v[62:63], v[90:91]
	v_fma_f64 v[127:128], v[127:128], v[119:120], v[145:146]
	v_mul_f64 v[90:91], v[123:124], v[113:114]
	v_fma_f64 v[113:114], v[58:59], v[115:116], v[147:148]
	v_fma_f64 v[26:27], v[26:27], v[119:120], -v[121:122]
	v_fma_f64 v[32:33], v[32:33], v[115:116], -v[117:118]
	v_add_f64 v[2:3], v[2:3], v[38:39]
	v_add_f64 v[123:124], v[134:135], v[139:140]
	v_fma_f64 v[109:110], v[141:142], s[6:7], v[109:110]
	v_add_f64 v[125:126], v[125:126], v[129:130]
	v_fma_f64 v[129:130], v[141:142], s[8:9], v[52:53]
	v_fma_f64 v[52:53], v[141:142], s[4:5], v[52:53]
	v_fma_f64 v[20:21], v[20:21], v[88:89], -v[62:63]
	v_fma_f64 v[62:63], v[22:23], v[111:112], -v[90:91]
	v_add_f64 v[88:89], v[127:128], v[113:114]
	v_fma_f64 v[38:39], v[123:124], -0.5, v[84:85]
	v_add_f64 v[111:112], v[26:27], -v[32:33]
	v_add_f64 v[2:3], v[137:138], v[2:3]
	v_fma_f64 v[99:100], v[105:106], s[16:17], v[99:100]
	v_fma_f64 v[22:23], v[105:106], s[16:17], v[109:110]
	;; [unrolled: 1-line block ×3, first 2 shown]
	v_add_f64 v[105:106], v[20:21], -v[62:63]
	v_fma_f64 v[88:89], v[88:89], -0.5, v[84:85]
	v_add_f64 v[109:110], v[127:128], -v[134:135]
	v_add_f64 v[115:116], v[113:114], -v[139:140]
	v_fma_f64 v[117:118], v[111:112], s[8:9], v[38:39]
	v_fma_f64 v[38:39], v[111:112], s[4:5], v[38:39]
	v_add_f64 v[2:3], v[2:3], v[107:108]
	v_add_f64 v[119:120], v[134:135], -v[127:128]
	v_add_f64 v[121:122], v[139:140], -v[113:114]
	v_add_f64 v[107:108], v[134:135], v[84:85]
	v_fma_f64 v[123:124], v[105:106], s[4:5], v[88:89]
	v_fma_f64 v[90:91], v[125:126], s[16:17], v[52:53]
	v_add_f64 v[52:53], v[109:110], v[115:116]
	v_fma_f64 v[109:110], v[105:106], s[6:7], v[117:118]
	v_fma_f64 v[38:39], v[105:106], s[14:15], v[38:39]
	v_add_f64 v[84:85], v[2:3], v[103:104]
	v_add_f64 v[103:104], v[20:21], v[62:63]
	;; [unrolled: 1-line block ×3, first 2 shown]
	v_fma_f64 v[88:89], v[105:106], s[8:9], v[88:89]
	v_add_f64 v[107:108], v[127:128], v[107:108]
	v_add_f64 v[119:120], v[26:27], v[32:33]
	v_fma_f64 v[117:118], v[111:112], s[6:7], v[123:124]
	v_fma_f64 v[2:3], v[52:53], s[16:17], v[109:110]
	;; [unrolled: 1-line block ×3, first 2 shown]
	v_add_f64 v[38:39], v[127:128], -v[113:114]
	v_fma_f64 v[52:53], v[103:104], -0.5, v[0:1]
	v_fma_f64 v[88:89], v[111:112], s[14:15], v[88:89]
	v_add_f64 v[103:104], v[113:114], v[107:108]
	v_add_f64 v[107:108], v[134:135], -v[139:140]
	v_fma_f64 v[111:112], v[119:120], -0.5, v[0:1]
	v_fma_f64 v[109:110], v[115:116], s[16:17], v[117:118]
	v_add_f64 v[113:114], v[26:27], -v[20:21]
	v_add_f64 v[0:1], v[0:1], v[20:21]
	v_add_f64 v[117:118], v[32:33], -v[62:63]
	v_fma_f64 v[119:120], v[38:39], s[4:5], v[52:53]
	v_fma_f64 v[52:53], v[38:39], s[8:9], v[52:53]
	v_add_f64 v[20:21], v[20:21], -v[26:27]
	v_add_f64 v[121:122], v[62:63], -v[32:33]
	v_fma_f64 v[123:124], v[107:108], s[8:9], v[111:112]
	v_fma_f64 v[111:112], v[107:108], s[4:5], v[111:112]
	v_add_f64 v[0:1], v[26:27], v[0:1]
	v_add_f64 v[26:27], v[113:114], v[117:118]
	v_fma_f64 v[119:120], v[107:108], s[14:15], v[119:120]
	v_fma_f64 v[52:53], v[107:108], s[6:7], v[52:53]
	;; [unrolled: 1-line block ×3, first 2 shown]
	v_add_f64 v[20:21], v[20:21], v[121:122]
	v_fma_f64 v[88:89], v[38:39], s[14:15], v[123:124]
	v_fma_f64 v[38:39], v[38:39], s[6:7], v[111:112]
	v_add_f64 v[32:33], v[0:1], v[32:33]
	v_add_f64 v[117:118], v[139:140], v[103:104]
	v_fma_f64 v[0:1], v[26:27], s[16:17], v[119:120]
	v_fma_f64 v[103:104], v[26:27], s[16:17], v[52:53]
	v_mul_hi_u32 v26, v136, s1
	v_mov_b32_e32 v27, s11
	v_fma_f64 v[107:108], v[20:21], s[16:17], v[88:89]
	v_fma_f64 v[111:112], v[20:21], s[16:17], v[38:39]
	v_sub_u32_e32 v20, v136, v26
	v_lshrrev_b32_e32 v20, 1, v20
	v_add_u32_e32 v20, v20, v26
	v_lshrrev_b32_e32 v20, 8, v20
	v_mul_u32_u24_e32 v20, 0x113, v20
	v_sub_u32_e32 v26, v136, v20
	v_lshlrev_b64 v[20:21], 4, v[82:83]
	v_add_f64 v[115:116], v[32:33], v[62:63]
	v_add_co_u32_e32 v32, vcc, s10, v20
	v_addc_co_u32_e32 v27, vcc, v27, v21, vcc
	v_lshlrev_b64 v[20:21], 4, v[132:133]
	v_fma_f64 v[58:59], v[143:144], s[14:15], v[129:130]
	v_add_co_u32_e32 v32, vcc, v32, v20
	v_addc_co_u32_e32 v33, vcc, v27, v21, vcc
	v_lshlrev_b32_e32 v20, 4, v26
	v_add_co_u32_e32 v20, vcc, v32, v20
	v_addc_co_u32_e32 v21, vcc, 0, v33, vcc
	v_add_co_u32_e32 v26, vcc, s0, v20
	v_addc_co_u32_e32 v27, vcc, 0, v21, vcc
	global_store_dwordx4 v[26:27], v[111:114], off offset:304
	v_add_co_u32_e32 v26, vcc, s2, v20
	v_addc_co_u32_e32 v27, vcc, 0, v21, vcc
	s_movk_i32 s0, 0x3000
	global_store_dwordx4 v[26:27], v[103:106], off offset:608
	v_add_co_u32_e32 v26, vcc, s0, v20
	v_addc_co_u32_e32 v27, vcc, 0, v21, vcc
	global_store_dwordx4 v[26:27], v[0:3], off offset:912
	s_movk_i32 s0, 0x4000
	v_add_u32_e32 v2, 55, v136
	v_mul_hi_u32 v3, v2, s1
	v_add_co_u32_e32 v0, vcc, s0, v20
	v_addc_co_u32_e32 v1, vcc, 0, v21, vcc
	global_store_dwordx4 v[0:1], v[107:110], off offset:1216
	v_sub_u32_e32 v0, v2, v3
	v_lshrrev_b32_e32 v0, 1, v0
	v_add_u32_e32 v0, v0, v3
	v_lshrrev_b32_e32 v0, 8, v0
	v_mul_u32_u24_e32 v1, 0x113, v0
	v_sub_u32_e32 v1, v2, v1
	s_movk_i32 s0, 0x55f
	v_mad_u32_u24 v80, v0, s0, v1
	v_lshlrev_b64 v[0:1], 4, v[80:81]
	global_store_dwordx4 v[20:21], v[115:118], off
	v_add_co_u32_e32 v0, vcc, v32, v0
	v_addc_co_u32_e32 v1, vcc, v33, v1, vcc
	global_store_dwordx4 v[0:1], v[84:87], off
	v_add_u32_e32 v0, 0x113, v80
	v_mov_b32_e32 v1, v81
	v_lshlrev_b64 v[0:1], 4, v[0:1]
	v_fma_f64 v[58:59], v[125:126], s[16:17], v[58:59]
	v_add_co_u32_e32 v0, vcc, v32, v0
	v_addc_co_u32_e32 v1, vcc, v33, v1, vcc
	global_store_dwordx4 v[0:1], v[90:93], off
	v_add_u32_e32 v0, 0x226, v80
	v_mov_b32_e32 v1, v81
	v_lshlrev_b64 v[0:1], 4, v[0:1]
	v_add_u32_e32 v2, 0x6e, v136
	v_add_co_u32_e32 v0, vcc, v32, v0
	v_addc_co_u32_e32 v1, vcc, v33, v1, vcc
	global_store_dwordx4 v[0:1], v[22:25], off
	v_add_u32_e32 v0, 0x339, v80
	v_mov_b32_e32 v1, v81
	v_lshlrev_b64 v[0:1], 4, v[0:1]
	v_add_u32_e32 v80, 0x44c, v80
	v_add_co_u32_e32 v0, vcc, v32, v0
	v_addc_co_u32_e32 v1, vcc, v33, v1, vcc
	global_store_dwordx4 v[0:1], v[99:102], off
	v_lshlrev_b64 v[0:1], 4, v[80:81]
	v_mul_hi_u32 v3, v2, s1
	v_add_co_u32_e32 v0, vcc, v32, v0
	v_addc_co_u32_e32 v1, vcc, v33, v1, vcc
	global_store_dwordx4 v[0:1], v[58:61], off
	v_sub_u32_e32 v0, v2, v3
	v_lshrrev_b32_e32 v0, 1, v0
	v_add_u32_e32 v0, v0, v3
	v_lshrrev_b32_e32 v0, 8, v0
	v_mul_u32_u24_e32 v1, 0x113, v0
	v_sub_u32_e32 v1, v2, v1
	v_mad_u32_u24 v80, v0, s0, v1
	v_lshlrev_b64 v[0:1], 4, v[80:81]
	v_add_u32_e32 v2, 0xa5, v136
	v_add_co_u32_e32 v0, vcc, v32, v0
	v_addc_co_u32_e32 v1, vcc, v33, v1, vcc
	global_store_dwordx4 v[0:1], v[95:98], off
	v_add_u32_e32 v0, 0x113, v80
	v_mov_b32_e32 v1, v81
	v_lshlrev_b64 v[0:1], 4, v[0:1]
	v_mul_hi_u32 v3, v2, s1
	v_add_co_u32_e32 v0, vcc, v32, v0
	v_addc_co_u32_e32 v1, vcc, v33, v1, vcc
	global_store_dwordx4 v[0:1], v[76:79], off
	v_add_u32_e32 v0, 0x226, v80
	v_mov_b32_e32 v1, v81
	v_lshlrev_b64 v[0:1], 4, v[0:1]
	v_add_co_u32_e32 v0, vcc, v32, v0
	v_addc_co_u32_e32 v1, vcc, v33, v1, vcc
	global_store_dwordx4 v[0:1], v[44:47], off
	v_add_u32_e32 v0, 0x339, v80
	v_mov_b32_e32 v1, v81
	v_lshlrev_b64 v[0:1], 4, v[0:1]
	v_add_u32_e32 v80, 0x44c, v80
	v_add_co_u32_e32 v0, vcc, v32, v0
	v_addc_co_u32_e32 v1, vcc, v33, v1, vcc
	global_store_dwordx4 v[0:1], v[72:75], off
	v_lshlrev_b64 v[0:1], 4, v[80:81]
	v_add_co_u32_e32 v0, vcc, v32, v0
	v_addc_co_u32_e32 v1, vcc, v33, v1, vcc
	global_store_dwordx4 v[0:1], v[28:31], off
	v_sub_u32_e32 v0, v2, v3
	v_lshrrev_b32_e32 v0, 1, v0
	v_add_u32_e32 v0, v0, v3
	v_lshrrev_b32_e32 v0, 8, v0
	v_mul_u32_u24_e32 v1, 0x113, v0
	v_sub_u32_e32 v1, v2, v1
	v_mad_u32_u24 v80, v0, s0, v1
	v_lshlrev_b64 v[0:1], 4, v[80:81]
	v_add_u32_e32 v2, 0xdc, v136
	v_add_co_u32_e32 v0, vcc, v32, v0
	v_addc_co_u32_e32 v1, vcc, v33, v1, vcc
	global_store_dwordx4 v[0:1], v[68:71], off
	v_add_u32_e32 v0, 0x113, v80
	v_mov_b32_e32 v1, v81
	v_lshlrev_b64 v[0:1], 4, v[0:1]
	v_mul_hi_u32 v3, v2, s1
	v_add_co_u32_e32 v0, vcc, v32, v0
	v_addc_co_u32_e32 v1, vcc, v33, v1, vcc
	global_store_dwordx4 v[0:1], v[64:67], off
	v_add_u32_e32 v0, 0x226, v80
	v_mov_b32_e32 v1, v81
	v_lshlrev_b64 v[0:1], 4, v[0:1]
	v_add_co_u32_e32 v0, vcc, v32, v0
	v_addc_co_u32_e32 v1, vcc, v33, v1, vcc
	global_store_dwordx4 v[0:1], v[54:57], off
	v_add_u32_e32 v0, 0x339, v80
	v_mov_b32_e32 v1, v81
	v_lshlrev_b64 v[0:1], 4, v[0:1]
	v_add_u32_e32 v80, 0x44c, v80
	v_add_co_u32_e32 v0, vcc, v32, v0
	v_addc_co_u32_e32 v1, vcc, v33, v1, vcc
	global_store_dwordx4 v[0:1], v[48:51], off
	v_lshlrev_b64 v[0:1], 4, v[80:81]
	v_add_co_u32_e32 v0, vcc, v32, v0
	v_addc_co_u32_e32 v1, vcc, v33, v1, vcc
	global_store_dwordx4 v[0:1], v[40:43], off
	v_sub_u32_e32 v0, v2, v3
	v_lshrrev_b32_e32 v0, 1, v0
	v_add_u32_e32 v0, v0, v3
	v_lshrrev_b32_e32 v0, 8, v0
	v_mul_u32_u24_e32 v1, 0x113, v0
	v_sub_u32_e32 v1, v2, v1
	v_mad_u32_u24 v80, v0, s0, v1
	v_lshlrev_b64 v[0:1], 4, v[80:81]
	v_add_co_u32_e32 v0, vcc, v32, v0
	v_addc_co_u32_e32 v1, vcc, v33, v1, vcc
	global_store_dwordx4 v[0:1], v[34:37], off
	v_add_u32_e32 v0, 0x113, v80
	v_mov_b32_e32 v1, v81
	v_lshlrev_b64 v[0:1], 4, v[0:1]
	v_add_co_u32_e32 v0, vcc, v32, v0
	v_addc_co_u32_e32 v1, vcc, v33, v1, vcc
	global_store_dwordx4 v[0:1], v[16:19], off
	v_add_u32_e32 v0, 0x226, v80
	v_mov_b32_e32 v1, v81
	;; [unrolled: 6-line block ×3, first 2 shown]
	v_lshlrev_b64 v[0:1], 4, v[0:1]
	v_add_u32_e32 v80, 0x44c, v80
	v_add_co_u32_e32 v0, vcc, v32, v0
	v_addc_co_u32_e32 v1, vcc, v33, v1, vcc
	global_store_dwordx4 v[0:1], v[8:11], off
	v_lshlrev_b64 v[0:1], 4, v[80:81]
	v_add_co_u32_e32 v0, vcc, v32, v0
	v_addc_co_u32_e32 v1, vcc, v33, v1, vcc
	global_store_dwordx4 v[0:1], v[4:7], off
.LBB0_21:
	s_endpgm
	.section	.rodata,"a",@progbits
	.p2align	6, 0x0
	.amdhsa_kernel fft_rtc_fwd_len1375_factors_11_5_5_5_wgs_55_tpt_55_halfLds_dp_op_CI_CI_unitstride_sbrr_dirReg
		.amdhsa_group_segment_fixed_size 0
		.amdhsa_private_segment_fixed_size 0
		.amdhsa_kernarg_size 104
		.amdhsa_user_sgpr_count 6
		.amdhsa_user_sgpr_private_segment_buffer 1
		.amdhsa_user_sgpr_dispatch_ptr 0
		.amdhsa_user_sgpr_queue_ptr 0
		.amdhsa_user_sgpr_kernarg_segment_ptr 1
		.amdhsa_user_sgpr_dispatch_id 0
		.amdhsa_user_sgpr_flat_scratch_init 0
		.amdhsa_user_sgpr_private_segment_size 0
		.amdhsa_uses_dynamic_stack 0
		.amdhsa_system_sgpr_private_segment_wavefront_offset 0
		.amdhsa_system_sgpr_workgroup_id_x 1
		.amdhsa_system_sgpr_workgroup_id_y 0
		.amdhsa_system_sgpr_workgroup_id_z 0
		.amdhsa_system_sgpr_workgroup_info 0
		.amdhsa_system_vgpr_workitem_id 0
		.amdhsa_next_free_vgpr 217
		.amdhsa_next_free_sgpr 40
		.amdhsa_reserve_vcc 1
		.amdhsa_reserve_flat_scratch 0
		.amdhsa_float_round_mode_32 0
		.amdhsa_float_round_mode_16_64 0
		.amdhsa_float_denorm_mode_32 3
		.amdhsa_float_denorm_mode_16_64 3
		.amdhsa_dx10_clamp 1
		.amdhsa_ieee_mode 1
		.amdhsa_fp16_overflow 0
		.amdhsa_exception_fp_ieee_invalid_op 0
		.amdhsa_exception_fp_denorm_src 0
		.amdhsa_exception_fp_ieee_div_zero 0
		.amdhsa_exception_fp_ieee_overflow 0
		.amdhsa_exception_fp_ieee_underflow 0
		.amdhsa_exception_fp_ieee_inexact 0
		.amdhsa_exception_int_div_zero 0
	.end_amdhsa_kernel
	.text
.Lfunc_end0:
	.size	fft_rtc_fwd_len1375_factors_11_5_5_5_wgs_55_tpt_55_halfLds_dp_op_CI_CI_unitstride_sbrr_dirReg, .Lfunc_end0-fft_rtc_fwd_len1375_factors_11_5_5_5_wgs_55_tpt_55_halfLds_dp_op_CI_CI_unitstride_sbrr_dirReg
                                        ; -- End function
	.section	.AMDGPU.csdata,"",@progbits
; Kernel info:
; codeLenInByte = 21976
; NumSgprs: 44
; NumVgprs: 217
; ScratchSize: 0
; MemoryBound: 1
; FloatMode: 240
; IeeeMode: 1
; LDSByteSize: 0 bytes/workgroup (compile time only)
; SGPRBlocks: 5
; VGPRBlocks: 54
; NumSGPRsForWavesPerEU: 44
; NumVGPRsForWavesPerEU: 217
; Occupancy: 1
; WaveLimiterHint : 1
; COMPUTE_PGM_RSRC2:SCRATCH_EN: 0
; COMPUTE_PGM_RSRC2:USER_SGPR: 6
; COMPUTE_PGM_RSRC2:TRAP_HANDLER: 0
; COMPUTE_PGM_RSRC2:TGID_X_EN: 1
; COMPUTE_PGM_RSRC2:TGID_Y_EN: 0
; COMPUTE_PGM_RSRC2:TGID_Z_EN: 0
; COMPUTE_PGM_RSRC2:TIDIG_COMP_CNT: 0
	.type	__hip_cuid_2f60fc02024e1237,@object ; @__hip_cuid_2f60fc02024e1237
	.section	.bss,"aw",@nobits
	.globl	__hip_cuid_2f60fc02024e1237
__hip_cuid_2f60fc02024e1237:
	.byte	0                               ; 0x0
	.size	__hip_cuid_2f60fc02024e1237, 1

	.ident	"AMD clang version 19.0.0git (https://github.com/RadeonOpenCompute/llvm-project roc-6.4.0 25133 c7fe45cf4b819c5991fe208aaa96edf142730f1d)"
	.section	".note.GNU-stack","",@progbits
	.addrsig
	.addrsig_sym __hip_cuid_2f60fc02024e1237
	.amdgpu_metadata
---
amdhsa.kernels:
  - .args:
      - .actual_access:  read_only
        .address_space:  global
        .offset:         0
        .size:           8
        .value_kind:     global_buffer
      - .offset:         8
        .size:           8
        .value_kind:     by_value
      - .actual_access:  read_only
        .address_space:  global
        .offset:         16
        .size:           8
        .value_kind:     global_buffer
      - .actual_access:  read_only
        .address_space:  global
        .offset:         24
        .size:           8
        .value_kind:     global_buffer
      - .actual_access:  read_only
        .address_space:  global
        .offset:         32
        .size:           8
        .value_kind:     global_buffer
      - .offset:         40
        .size:           8
        .value_kind:     by_value
      - .actual_access:  read_only
        .address_space:  global
        .offset:         48
        .size:           8
        .value_kind:     global_buffer
      - .actual_access:  read_only
        .address_space:  global
        .offset:         56
        .size:           8
        .value_kind:     global_buffer
      - .offset:         64
        .size:           4
        .value_kind:     by_value
      - .actual_access:  read_only
        .address_space:  global
        .offset:         72
        .size:           8
        .value_kind:     global_buffer
      - .actual_access:  read_only
        .address_space:  global
        .offset:         80
        .size:           8
        .value_kind:     global_buffer
      - .actual_access:  read_only
        .address_space:  global
        .offset:         88
        .size:           8
        .value_kind:     global_buffer
      - .actual_access:  write_only
        .address_space:  global
        .offset:         96
        .size:           8
        .value_kind:     global_buffer
    .group_segment_fixed_size: 0
    .kernarg_segment_align: 8
    .kernarg_segment_size: 104
    .language:       OpenCL C
    .language_version:
      - 2
      - 0
    .max_flat_workgroup_size: 55
    .name:           fft_rtc_fwd_len1375_factors_11_5_5_5_wgs_55_tpt_55_halfLds_dp_op_CI_CI_unitstride_sbrr_dirReg
    .private_segment_fixed_size: 0
    .sgpr_count:     44
    .sgpr_spill_count: 0
    .symbol:         fft_rtc_fwd_len1375_factors_11_5_5_5_wgs_55_tpt_55_halfLds_dp_op_CI_CI_unitstride_sbrr_dirReg.kd
    .uniform_work_group_size: 1
    .uses_dynamic_stack: false
    .vgpr_count:     217
    .vgpr_spill_count: 0
    .wavefront_size: 64
amdhsa.target:   amdgcn-amd-amdhsa--gfx906
amdhsa.version:
  - 1
  - 2
...

	.end_amdgpu_metadata
